;; amdgpu-corpus repo=ROCm/rocFFT kind=compiled arch=gfx906 opt=O3
	.text
	.amdgcn_target "amdgcn-amd-amdhsa--gfx906"
	.amdhsa_code_object_version 6
	.protected	bluestein_single_back_len1326_dim1_half_op_CI_CI ; -- Begin function bluestein_single_back_len1326_dim1_half_op_CI_CI
	.globl	bluestein_single_back_len1326_dim1_half_op_CI_CI
	.p2align	8
	.type	bluestein_single_back_len1326_dim1_half_op_CI_CI,@function
bluestein_single_back_len1326_dim1_half_op_CI_CI: ; @bluestein_single_back_len1326_dim1_half_op_CI_CI
; %bb.0:
	s_mov_b64 s[50:51], s[2:3]
	s_mov_b64 s[48:49], s[0:1]
	s_load_dwordx4 s[0:3], s[4:5], 0x28
	v_mul_u32_u24_e32 v1, 0x283, v0
	v_lshrrev_b32_e32 v1, 16, v1
	v_lshl_add_u32 v240, s6, 1, v1
	v_mov_b32_e32 v241, 0
	s_add_u32 s48, s48, s7
	s_waitcnt lgkmcnt(0)
	v_cmp_gt_u64_e32 vcc, s[0:1], v[240:241]
	s_addc_u32 s49, s49, 0
	s_and_saveexec_b64 s[0:1], vcc
	s_cbranch_execz .LBB0_23
; %bb.1:
	s_load_dwordx2 s[6:7], s[4:5], 0x0
	s_load_dwordx2 s[12:13], s[4:5], 0x38
	v_mul_lo_u16_e32 v2, 0x66, v1
	v_sub_u16_e32 v46, v0, v2
	v_and_b32_e32 v0, 1, v1
	v_mov_b32_e32 v1, 0x52e
	v_cmp_eq_u32_e32 vcc, 1, v0
	v_cndmask_b32_e32 v31, 0, v1, vcc
	s_movk_i32 s0, 0x4e
	v_cmp_gt_u16_e64 s[0:1], s0, v46
	v_lshlrev_b32_e32 v239, 2, v46
	v_lshlrev_b32_e32 v241, 2, v31
	s_and_saveexec_b64 s[8:9], s[0:1]
	s_cbranch_execz .LBB0_3
; %bb.2:
	s_load_dwordx2 s[10:11], s[4:5], 0x18
	s_waitcnt lgkmcnt(0)
	v_mov_b32_e32 v12, s7
	v_lshl_add_u32 v13, v46, 2, v241
	v_add_u32_e32 v14, v241, v239
	s_load_dwordx4 s[16:19], s[10:11], 0x0
	s_waitcnt lgkmcnt(0)
	v_mad_u64_u32 v[0:1], s[10:11], s18, v240, 0
	v_mad_u64_u32 v[2:3], s[10:11], s16, v46, 0
	;; [unrolled: 1-line block ×4, first 2 shown]
	v_mov_b32_e32 v1, v4
	v_lshlrev_b64 v[0:1], 2, v[0:1]
	v_mov_b32_e32 v3, v5
	v_mov_b32_e32 v6, s3
	v_lshlrev_b64 v[2:3], 2, v[2:3]
	v_add_co_u32_e32 v0, vcc, s2, v0
	v_addc_co_u32_e32 v1, vcc, v6, v1, vcc
	v_add_co_u32_e32 v0, vcc, v0, v2
	s_mul_i32 s2, s17, 0x138
	s_mul_hi_u32 s3, s16, 0x138
	v_addc_co_u32_e32 v1, vcc, v1, v3, vcc
	s_add_i32 s3, s3, s2
	s_mul_i32 s2, s16, 0x138
	v_mov_b32_e32 v3, s3
	v_add_co_u32_e32 v2, vcc, s2, v0
	v_addc_co_u32_e32 v3, vcc, v1, v3, vcc
	global_load_dword v4, v[0:1], off
	global_load_dword v5, v[2:3], off
	global_load_dword v6, v239, s[6:7]
	global_load_dword v7, v239, s[6:7] offset:312
	v_mov_b32_e32 v1, s3
	v_add_co_u32_e32 v0, vcc, s2, v2
	v_addc_co_u32_e32 v1, vcc, v3, v1, vcc
	global_load_dword v2, v[0:1], off
	global_load_dword v3, v239, s[6:7] offset:624
	v_mov_b32_e32 v8, s3
	v_add_co_u32_e32 v0, vcc, s2, v0
	v_addc_co_u32_e32 v1, vcc, v1, v8, vcc
	global_load_dword v8, v[0:1], off
	;; [unrolled: 5-line block ×3, first 2 shown]
	global_load_dword v11, v239, s[6:7] offset:1248
	v_add_co_u32_e32 v18, vcc, s6, v239
	v_addc_co_u32_e32 v12, vcc, 0, v12, vcc
	v_mov_b32_e32 v19, s3
	v_add_co_u32_e32 v0, vcc, s2, v0
	v_addc_co_u32_e32 v1, vcc, v1, v19, vcc
	global_load_dword v15, v239, s[6:7] offset:1560
	global_load_dword v16, v239, s[6:7] offset:1872
	;; [unrolled: 1-line block ×3, first 2 shown]
	global_load_dword v19, v[0:1], off
	v_mov_b32_e32 v20, s3
	v_add_co_u32_e32 v0, vcc, s2, v0
	v_addc_co_u32_e32 v1, vcc, v1, v20, vcc
	global_load_dword v20, v[0:1], off
	v_add_co_u32_e32 v0, vcc, s2, v0
	s_movk_i32 s10, 0x1000
	s_waitcnt vmcnt(14)
	v_lshrrev_b32_e32 v21, 16, v4
	s_waitcnt vmcnt(12)
	v_mul_f16_sdwa v22, v6, v4 dst_sel:DWORD dst_unused:UNUSED_PAD src0_sel:WORD_1 src1_sel:DWORD
	v_mul_f16_sdwa v23, v6, v21 dst_sel:DWORD dst_unused:UNUSED_PAD src0_sel:WORD_1 src1_sel:DWORD
	v_fma_f16 v21, v6, v21, -v22
	v_lshrrev_b32_e32 v22, 16, v5
	s_waitcnt vmcnt(11)
	v_mul_f16_sdwa v25, v7, v5 dst_sel:DWORD dst_unused:UNUSED_PAD src0_sel:WORD_1 src1_sel:DWORD
	v_fma_f16 v4, v6, v4, v23
	v_mul_f16_sdwa v6, v7, v22 dst_sel:DWORD dst_unused:UNUSED_PAD src0_sel:WORD_1 src1_sel:DWORD
	s_waitcnt vmcnt(10)
	v_lshrrev_b32_e32 v23, 16, v2
	v_fma_f16 v22, v7, v22, -v25
	s_waitcnt vmcnt(9)
	v_mul_f16_sdwa v25, v3, v2 dst_sel:DWORD dst_unused:UNUSED_PAD src0_sel:WORD_1 src1_sel:DWORD
	v_fma_f16 v5, v7, v5, v6
	v_mul_f16_sdwa v6, v3, v23 dst_sel:DWORD dst_unused:UNUSED_PAD src0_sel:WORD_1 src1_sel:DWORD
	v_pack_b32_f16 v4, v4, v21
	v_fma_f16 v7, v3, v23, -v25
	v_fma_f16 v2, v3, v2, v6
	ds_write_b32 v13, v4
	v_pack_b32_f16 v4, v5, v22
	v_pack_b32_f16 v2, v2, v7
	s_waitcnt vmcnt(8)
	v_lshrrev_b32_e32 v21, 16, v8
	ds_write2_b32 v14, v4, v2 offset0:78 offset1:156
	v_mov_b32_e32 v2, s3
	s_waitcnt vmcnt(7)
	v_mul_f16_sdwa v3, v9, v21 dst_sel:DWORD dst_unused:UNUSED_PAD src0_sel:WORD_1 src1_sel:DWORD
	v_addc_co_u32_e32 v1, vcc, v1, v2, vcc
	v_mul_f16_sdwa v23, v9, v8 dst_sel:DWORD dst_unused:UNUSED_PAD src0_sel:WORD_1 src1_sel:DWORD
	v_fma_f16 v7, v9, v8, v3
	global_load_dword v8, v[0:1], off
	v_add_co_u32_e32 v0, vcc, s2, v0
	v_addc_co_u32_e32 v1, vcc, v1, v2, vcc
	v_fma_f16 v5, v9, v21, -v23
	s_waitcnt vmcnt(7)
	v_lshrrev_b32_e32 v6, 16, v10
	global_load_dword v9, v[0:1], off
	v_add_co_u32_e32 v0, vcc, s2, v0
	s_waitcnt vmcnt(7)
	v_mul_f16_sdwa v13, v11, v10 dst_sel:DWORD dst_unused:UNUSED_PAD src0_sel:WORD_1 src1_sel:DWORD
	v_mul_f16_sdwa v3, v11, v6 dst_sel:DWORD dst_unused:UNUSED_PAD src0_sel:WORD_1 src1_sel:DWORD
	v_addc_co_u32_e32 v1, vcc, v1, v2, vcc
	v_fma_f16 v6, v11, v6, -v13
	v_fma_f16 v4, v11, v10, v3
	global_load_dword v10, v[0:1], off
	global_load_dword v11, v239, s[6:7] offset:2496
	v_add_co_u32_e32 v0, vcc, s2, v0
	v_addc_co_u32_e32 v1, vcc, v1, v2, vcc
	global_load_dword v13, v[0:1], off
	global_load_dword v21, v239, s[6:7] offset:2808
	global_load_dword v22, v239, s[6:7] offset:3120
	v_add_co_u32_e32 v0, vcc, s2, v0
	v_addc_co_u32_e32 v1, vcc, v1, v2, vcc
	global_load_dword v23, v[0:1], off
	v_add_co_u32_e32 v0, vcc, s2, v0
	v_addc_co_u32_e32 v1, vcc, v1, v2, vcc
	global_load_dword v25, v[0:1], off
	global_load_dword v26, v239, s[6:7] offset:3432
	v_add_co_u32_e32 v0, vcc, s2, v0
	v_addc_co_u32_e32 v1, vcc, v1, v2, vcc
	global_load_dword v27, v[0:1], off
	global_load_dword v28, v239, s[6:7] offset:3744
	global_load_dword v29, v239, s[6:7] offset:4056
	v_add_co_u32_e32 v0, vcc, s2, v0
	v_addc_co_u32_e32 v1, vcc, v1, v2, vcc
	v_add_co_u32_e32 v2, vcc, s10, v18
	global_load_dword v30, v[0:1], off
	v_addc_co_u32_e32 v3, vcc, 0, v12, vcc
	global_load_dword v18, v[2:3], off offset:272
	v_mov_b32_e32 v12, s3
	v_add_co_u32_e32 v0, vcc, s2, v0
	v_addc_co_u32_e32 v1, vcc, v1, v12, vcc
	global_load_dword v32, v[0:1], off
	global_load_dword v33, v[2:3], off offset:584
	v_add_co_u32_e32 v0, vcc, s2, v0
	v_addc_co_u32_e32 v1, vcc, v1, v12, vcc
	v_pack_b32_f16 v5, v7, v5
	v_pack_b32_f16 v4, v4, v6
	global_load_dword v6, v[0:1], off
	global_load_dword v7, v[2:3], off offset:896
	v_add_u32_e32 v0, 0x200, v14
	ds_write2_b32 v0, v5, v4 offset0:106 offset1:184
	s_waitcnt vmcnt(20)
	v_lshrrev_b32_e32 v0, 16, v19
	v_mul_f16_sdwa v1, v15, v0 dst_sel:DWORD dst_unused:UNUSED_PAD src0_sel:WORD_1 src1_sel:DWORD
	v_mul_f16_sdwa v2, v15, v19 dst_sel:DWORD dst_unused:UNUSED_PAD src0_sel:WORD_1 src1_sel:DWORD
	v_fma_f16 v1, v15, v19, v1
	v_fma_f16 v0, v15, v0, -v2
	v_pack_b32_f16 v0, v1, v0
	s_waitcnt vmcnt(19)
	v_lshrrev_b32_e32 v1, 16, v20
	v_mul_f16_sdwa v2, v16, v1 dst_sel:DWORD dst_unused:UNUSED_PAD src0_sel:WORD_1 src1_sel:DWORD
	v_mul_f16_sdwa v3, v16, v20 dst_sel:DWORD dst_unused:UNUSED_PAD src0_sel:WORD_1 src1_sel:DWORD
	v_fma_f16 v2, v16, v20, v2
	v_fma_f16 v1, v16, v1, -v3
	v_pack_b32_f16 v1, v2, v1
	v_add_u32_e32 v2, 0x400, v14
	ds_write2_b32 v2, v0, v1 offset0:134 offset1:212
	s_waitcnt vmcnt(18)
	v_lshrrev_b32_e32 v0, 16, v8
	v_mul_f16_sdwa v1, v17, v0 dst_sel:DWORD dst_unused:UNUSED_PAD src0_sel:WORD_1 src1_sel:DWORD
	v_mul_f16_sdwa v2, v17, v8 dst_sel:DWORD dst_unused:UNUSED_PAD src0_sel:WORD_1 src1_sel:DWORD
	v_fma_f16 v1, v17, v8, v1
	v_fma_f16 v0, v17, v0, -v2
	v_pack_b32_f16 v0, v1, v0
	s_waitcnt vmcnt(17)
	v_lshrrev_b32_e32 v1, 16, v9
	s_waitcnt vmcnt(15)
	v_mul_f16_sdwa v2, v11, v1 dst_sel:DWORD dst_unused:UNUSED_PAD src0_sel:WORD_1 src1_sel:DWORD
	v_mul_f16_sdwa v3, v11, v9 dst_sel:DWORD dst_unused:UNUSED_PAD src0_sel:WORD_1 src1_sel:DWORD
	v_fma_f16 v2, v11, v9, v2
	v_fma_f16 v1, v11, v1, -v3
	v_pack_b32_f16 v1, v2, v1
	v_add_u32_e32 v2, 0x800, v14
	ds_write2_b32 v2, v0, v1 offset0:34 offset1:112
	v_lshrrev_b32_e32 v0, 16, v10
	s_waitcnt vmcnt(13)
	v_mul_f16_sdwa v1, v21, v0 dst_sel:DWORD dst_unused:UNUSED_PAD src0_sel:WORD_1 src1_sel:DWORD
	v_mul_f16_sdwa v2, v21, v10 dst_sel:DWORD dst_unused:UNUSED_PAD src0_sel:WORD_1 src1_sel:DWORD
	v_fma_f16 v1, v21, v10, v1
	v_fma_f16 v0, v21, v0, -v2
	v_pack_b32_f16 v0, v1, v0
	v_lshrrev_b32_e32 v1, 16, v13
	s_waitcnt vmcnt(12)
	v_mul_f16_sdwa v2, v22, v1 dst_sel:DWORD dst_unused:UNUSED_PAD src0_sel:WORD_1 src1_sel:DWORD
	v_mul_f16_sdwa v3, v22, v13 dst_sel:DWORD dst_unused:UNUSED_PAD src0_sel:WORD_1 src1_sel:DWORD
	v_fma_f16 v2, v22, v13, v2
	v_fma_f16 v1, v22, v1, -v3
	v_pack_b32_f16 v1, v2, v1
	v_add_u32_e32 v2, 0xa00, v14
	ds_write2_b32 v2, v0, v1 offset0:62 offset1:140
	s_waitcnt vmcnt(11)
	v_lshrrev_b32_e32 v0, 16, v23
	s_waitcnt vmcnt(9)
	v_mul_f16_sdwa v1, v26, v0 dst_sel:DWORD dst_unused:UNUSED_PAD src0_sel:WORD_1 src1_sel:DWORD
	v_mul_f16_sdwa v2, v26, v23 dst_sel:DWORD dst_unused:UNUSED_PAD src0_sel:WORD_1 src1_sel:DWORD
	v_fma_f16 v1, v26, v23, v1
	v_fma_f16 v0, v26, v0, -v2
	v_pack_b32_f16 v0, v1, v0
	v_lshrrev_b32_e32 v1, 16, v25
	s_waitcnt vmcnt(7)
	v_mul_f16_sdwa v2, v28, v1 dst_sel:DWORD dst_unused:UNUSED_PAD src0_sel:WORD_1 src1_sel:DWORD
	v_mul_f16_sdwa v3, v28, v25 dst_sel:DWORD dst_unused:UNUSED_PAD src0_sel:WORD_1 src1_sel:DWORD
	v_fma_f16 v2, v28, v25, v2
	v_fma_f16 v1, v28, v1, -v3
	v_pack_b32_f16 v1, v2, v1
	v_add_u32_e32 v2, 0xc00, v14
	ds_write2_b32 v2, v0, v1 offset0:90 offset1:168
	v_lshrrev_b32_e32 v0, 16, v27
	s_waitcnt vmcnt(6)
	v_mul_f16_sdwa v1, v29, v0 dst_sel:DWORD dst_unused:UNUSED_PAD src0_sel:WORD_1 src1_sel:DWORD
	v_mul_f16_sdwa v2, v29, v27 dst_sel:DWORD dst_unused:UNUSED_PAD src0_sel:WORD_1 src1_sel:DWORD
	v_fma_f16 v1, v29, v27, v1
	v_fma_f16 v0, v29, v0, -v2
	v_pack_b32_f16 v0, v1, v0
	s_waitcnt vmcnt(5)
	v_lshrrev_b32_e32 v1, 16, v30
	s_waitcnt vmcnt(4)
	v_mul_f16_sdwa v2, v18, v1 dst_sel:DWORD dst_unused:UNUSED_PAD src0_sel:WORD_1 src1_sel:DWORD
	v_mul_f16_sdwa v3, v18, v30 dst_sel:DWORD dst_unused:UNUSED_PAD src0_sel:WORD_1 src1_sel:DWORD
	v_fma_f16 v2, v18, v30, v2
	v_fma_f16 v1, v18, v1, -v3
	v_pack_b32_f16 v1, v2, v1
	v_add_u32_e32 v2, 0xe00, v14
	ds_write2_b32 v2, v0, v1 offset0:118 offset1:196
	s_waitcnt vmcnt(3)
	v_lshrrev_b32_e32 v0, 16, v32
	s_waitcnt vmcnt(2)
	v_mul_f16_sdwa v1, v33, v0 dst_sel:DWORD dst_unused:UNUSED_PAD src0_sel:WORD_1 src1_sel:DWORD
	v_mul_f16_sdwa v2, v33, v32 dst_sel:DWORD dst_unused:UNUSED_PAD src0_sel:WORD_1 src1_sel:DWORD
	v_fma_f16 v1, v33, v32, v1
	v_fma_f16 v0, v33, v0, -v2
	v_pack_b32_f16 v0, v1, v0
	s_waitcnt vmcnt(1)
	v_lshrrev_b32_e32 v1, 16, v6
	s_waitcnt vmcnt(0)
	v_mul_f16_sdwa v2, v7, v1 dst_sel:DWORD dst_unused:UNUSED_PAD src0_sel:WORD_1 src1_sel:DWORD
	v_mul_f16_sdwa v3, v7, v6 dst_sel:DWORD dst_unused:UNUSED_PAD src0_sel:WORD_1 src1_sel:DWORD
	v_fma_f16 v2, v7, v6, v2
	v_fma_f16 v1, v7, v1, -v3
	v_pack_b32_f16 v1, v2, v1
	v_add_u32_e32 v2, 0x1000, v14
	ds_write2_b32 v2, v0, v1 offset0:146 offset1:224
.LBB0_3:
	s_or_b64 exec, exec, s[8:9]
	v_mov_b32_e32 v0, 0
	s_waitcnt lgkmcnt(0)
	s_barrier
	s_waitcnt lgkmcnt(0)
                                        ; implicit-def: $vgpr20
                                        ; implicit-def: $vgpr5
                                        ; implicit-def: $vgpr3
                                        ; implicit-def: $vgpr11
                                        ; implicit-def: $vgpr9
                                        ; implicit-def: $vgpr7
                                        ; implicit-def: $vgpr15
                                        ; implicit-def: $vgpr17
                                        ; implicit-def: $vgpr56
	s_and_saveexec_b64 s[2:3], s[0:1]
	s_cbranch_execz .LBB0_5
; %bb.4:
	v_lshl_add_u32 v12, v31, 2, v239
	v_add_u32_e32 v2, 0x400, v12
	ds_read2_b32 v[0:1], v12 offset1:78
	ds_read2_b32 v[16:17], v12 offset0:156 offset1:234
	ds_read2_b32 v[14:15], v2 offset0:56 offset1:134
	v_add_u32_e32 v2, 0x600, v12
	ds_read2_b32 v[6:7], v2 offset0:84 offset1:162
	v_add_u32_e32 v2, 0x800, v12
	;; [unrolled: 2-line block ×3, first 2 shown]
	v_add_u32_e32 v4, 0x1000, v12
	ds_read2_b32 v[10:11], v2 offset0:12 offset1:90
	ds_read2_b32 v[2:3], v2 offset0:168 offset1:246
	;; [unrolled: 1-line block ×3, first 2 shown]
	ds_read_b32 v20, v12 offset:4992
	s_waitcnt lgkmcnt(7)
	v_alignbit_b32 v56, v16, v16, 16
.LBB0_5:
	s_or_b64 exec, exec, s[2:3]
	s_waitcnt lgkmcnt(0)
	v_pk_add_f16 v21, v1, v20 neg_lo:[0,1] neg_hi:[0,1]
	s_mov_b32 s27, 0xbbf7
	v_pk_add_f16 v22, v20, v1
	s_movk_i32 s15, 0x2de8
	v_mul_f16_sdwa v41, v21, s27 dst_sel:DWORD dst_unused:UNUSED_PAD src0_sel:WORD_1 src1_sel:DWORD
	s_mov_b32 s11, 0xbbb2
	v_pk_add_f16 v23, v5, v56 op_sel:[1,0] op_sel_hi:[0,1]
	v_pk_add_f16 v25, v56, v5 op_sel:[1,0] op_sel_hi:[0,1] neg_lo:[0,1] neg_hi:[0,1]
	s_mov_b32 s17, 0xb1e1
	v_fma_f16 v12, v22, s15, v41
	s_mov_b32 s16, 0xb461
	v_mul_f16_sdwa v51, v21, s11 dst_sel:DWORD dst_unused:UNUSED_PAD src0_sel:WORD_1 src1_sel:DWORD
	v_lshrrev_b32_e32 v29, 16, v23
	s_mov_b32 s18, 0xbbdd
	v_mul_f16_sdwa v50, v25, s17 dst_sel:DWORD dst_unused:UNUSED_PAD src0_sel:WORD_1 src1_sel:DWORD
	s_movk_i32 s2, 0x3836
	v_add_f16_e32 v12, v12, v0
	v_fma_f16 v13, v22, s16, v51
	v_fma_f16 v16, v29, s18, v50
	s_mov_b32 s19, 0xbacd
	v_mul_f16_sdwa v53, v25, s2 dst_sel:DWORD dst_unused:UNUSED_PAD src0_sel:WORD_1 src1_sel:DWORD
	v_pk_add_f16 v26, v17, v4 neg_lo:[0,1] neg_hi:[0,1]
	s_movk_i32 s28, 0x3bb2
	v_add_f16_e32 v13, v13, v0
	v_add_f16_e32 v12, v16, v12
	v_fma_f16 v16, v29, s19, v53
	v_pk_add_f16 v27, v4, v17
	v_mul_f16_sdwa v52, v26, s28 dst_sel:DWORD dst_unused:UNUSED_PAD src0_sel:WORD_1 src1_sel:DWORD
	s_movk_i32 s20, 0x3964
	s_movk_i32 s14, 0x39e9
	v_add_f16_e32 v13, v16, v13
	v_fma_f16 v16, v27, s16, v52
	v_mul_f16_sdwa v55, v26, s20 dst_sel:DWORD dst_unused:UNUSED_PAD src0_sel:WORD_1 src1_sel:DWORD
	v_pk_add_f16 v28, v14, v3 neg_lo:[0,1] neg_hi:[0,1]
	s_movk_i32 s22, 0x35c8
	s_movk_i32 s10, 0x3b76
	v_add_f16_e32 v12, v16, v12
	v_fma_f16 v16, v27, s14, v55
	v_pk_add_f16 v30, v3, v14
	v_mul_f16_sdwa v54, v28, s22 dst_sel:DWORD dst_unused:UNUSED_PAD src0_sel:WORD_1 src1_sel:DWORD
	s_mov_b32 s2, 0xbb29
	v_add_f16_e32 v13, v16, v13
	v_fma_f16 v16, v30, s10, v54
	s_movk_i32 s21, 0x3722
	v_mul_f16_sdwa v58, v28, s2 dst_sel:DWORD dst_unused:UNUSED_PAD src0_sel:WORD_1 src1_sel:DWORD
	v_pk_add_f16 v33, v15, v2 neg_lo:[0,1] neg_hi:[0,1]
	v_add_f16_e32 v12, v16, v12
	v_fma_f16 v16, v30, s21, v58
	v_pk_add_f16 v34, v2, v15
	v_mul_f16_sdwa v57, v33, s2 dst_sel:DWORD dst_unused:UNUSED_PAD src0_sel:WORD_1 src1_sel:DWORD
	v_add_f16_e32 v13, v16, v13
	v_fma_f16 v16, v34, s21, v57
	v_mul_f16_sdwa v61, v33, s17 dst_sel:DWORD dst_unused:UNUSED_PAD src0_sel:WORD_1 src1_sel:DWORD
	s_mov_b32 s24, 0xb836
	v_pk_add_f16 v36, v6, v11 neg_lo:[0,1] neg_hi:[0,1]
	v_add_f16_e32 v12, v16, v12
	v_fma_f16 v16, v34, s18, v61
	v_pk_add_f16 v38, v11, v6
	v_mul_f16_sdwa v60, v36, s24 dst_sel:DWORD dst_unused:UNUSED_PAD src0_sel:WORD_1 src1_sel:DWORD
	s_movk_i32 s23, 0x3bf7
	v_add_f16_e32 v13, v16, v13
	v_fma_f16 v16, v38, s19, v60
	v_mul_f16_sdwa v67, v36, s23 dst_sel:DWORD dst_unused:UNUSED_PAD src0_sel:WORD_1 src1_sel:DWORD
	s_movk_i32 s31, 0x3a62
	v_pk_add_f16 v40, v7, v10 neg_lo:[0,1] neg_hi:[0,1]
	v_add_f16_e32 v12, v16, v12
	v_fma_f16 v16, v38, s15, v67
	s_mov_b32 s25, 0xb8d2
	v_pk_add_f16 v44, v10, v7
	v_mul_f16_sdwa v64, v40, s31 dst_sel:DWORD dst_unused:UNUSED_PAD src0_sel:WORD_1 src1_sel:DWORD
	s_mov_b32 s30, 0xb5c8
	v_add_f16_e32 v13, v16, v13
	v_fma_f16 v16, v44, s25, v64
	v_mul_f16_sdwa v73, v40, s30 dst_sel:DWORD dst_unused:UNUSED_PAD src0_sel:WORD_1 src1_sel:DWORD
	v_pk_add_f16 v43, v8, v9 neg_lo:[0,1] neg_hi:[0,1]
	v_add_f16_e32 v12, v16, v12
	v_fma_f16 v16, v44, s10, v73
	s_mov_b32 s26, 0xba62
	v_pk_add_f16 v47, v9, v8
	v_mul_f16_sdwa v74, v43, s20 dst_sel:DWORD dst_unused:UNUSED_PAD src0_sel:WORD_1 src1_sel:DWORD
	v_add_f16_e32 v16, v16, v13
	v_fma_f16 v13, v47, s14, v74
	v_mul_f16_sdwa v86, v43, s26 dst_sel:DWORD dst_unused:UNUSED_PAD src0_sel:WORD_1 src1_sel:DWORD
	v_add_f16_e32 v13, v13, v12
	v_fma_f16 v12, v47, s25, v86
	v_mul_f16_sdwa v63, v21, s30 dst_sel:DWORD dst_unused:UNUSED_PAD src0_sel:WORD_1 src1_sel:DWORD
	s_mov_b32 s33, 0xb964
	v_add_f16_e32 v12, v12, v16
	v_fma_f16 v16, v22, s10, v63
	v_mul_f16_sdwa v65, v25, s33 dst_sel:DWORD dst_unused:UNUSED_PAD src0_sel:WORD_1 src1_sel:DWORD
	v_add_f16_e32 v16, v16, v0
	v_fma_f16 v18, v29, s14, v65
	v_lshrrev_b32_e32 v59, 16, v22
	v_mul_f16_e32 v69, 0xb964, v21
	v_add_f16_e32 v16, v18, v16
	v_fma_f16 v18, v59, s14, -v69
	v_mul_f16_e32 v70, 0xbbf7, v25
	v_add_f16_sdwa v18, v18, v0 dst_sel:DWORD dst_unused:UNUSED_PAD src0_sel:DWORD src1_sel:WORD_1
	v_fma_f16 v19, v23, s15, -v70
	v_mul_f16_sdwa v77, v21, s2 dst_sel:DWORD dst_unused:UNUSED_PAD src0_sel:WORD_1 src1_sel:DWORD
	v_add_f16_e32 v18, v19, v18
	v_fma_f16 v19, v22, s21, v77
	v_mul_f16_sdwa v78, v25, s26 dst_sel:DWORD dst_unused:UNUSED_PAD src0_sel:WORD_1 src1_sel:DWORD
	v_add_f16_e32 v19, v19, v0
	v_fma_f16 v32, v29, s25, v78
	v_mul_f16_e32 v81, 0xbb29, v21
	v_add_f16_e32 v19, v32, v19
	v_fma_f16 v32, v59, s21, -v81
	v_mul_f16_e32 v82, 0xba62, v25
	v_add_f16_sdwa v32, v32, v0 dst_sel:DWORD dst_unused:UNUSED_PAD src0_sel:DWORD src1_sel:WORD_1
	v_fma_f16 v35, v23, s25, -v82
	v_mul_f16_e32 v92, 0xbbf7, v21
	v_add_f16_e32 v32, v35, v32
	v_fma_f16 v35, v59, s15, -v92
	v_mul_f16_e32 v94, 0xb1e1, v25
	v_add_f16_sdwa v35, v35, v0 dst_sel:DWORD dst_unused:UNUSED_PAD src0_sel:DWORD src1_sel:WORD_1
	v_fma_f16 v37, v23, s18, -v94
	;; [unrolled: 6-line block ×3, first 2 shown]
	v_mul_f16_sdwa v71, v26, s2 dst_sel:DWORD dst_unused:UNUSED_PAD src0_sel:WORD_1 src1_sel:DWORD
	v_add_f16_e32 v37, v39, v37
	v_fma_f16 v39, v27, s21, v71
	v_lshrrev_b32_e32 v62, 16, v27
	v_mul_f16_e32 v79, 0xba62, v26
	s_movk_i32 s2, 0x31e1
	v_add_f16_e32 v16, v39, v16
	v_fma_f16 v39, v62, s25, -v79
	v_mul_f16_sdwa v84, v26, s2 dst_sel:DWORD dst_unused:UNUSED_PAD src0_sel:WORD_1 src1_sel:DWORD
	v_add_f16_e32 v18, v39, v18
	v_fma_f16 v39, v27, s18, v84
	v_mul_f16_e32 v89, 0x31e1, v26
	v_add_f16_e32 v19, v39, v19
	v_fma_f16 v39, v62, s18, -v89
	v_mul_f16_e32 v100, 0x3bb2, v26
	v_add_f16_e32 v32, v39, v32
	v_fma_f16 v39, v62, s16, -v100
	v_mul_f16_e32 v115, 0x3964, v26
	v_add_f16_e32 v35, v39, v35
	v_fma_f16 v39, v62, s14, -v115
	v_mul_f16_sdwa v75, v28, s27 dst_sel:DWORD dst_unused:UNUSED_PAD src0_sel:WORD_1 src1_sel:DWORD
	v_add_f16_e32 v37, v39, v37
	v_fma_f16 v39, v30, s15, v75
	v_lshrrev_b32_e32 v66, 16, v30
	v_mul_f16_e32 v83, 0xb1e1, v28
	v_add_f16_e32 v16, v39, v16
	v_fma_f16 v39, v66, s18, -v83
	v_mul_f16_sdwa v88, v28, s28 dst_sel:DWORD dst_unused:UNUSED_PAD src0_sel:WORD_1 src1_sel:DWORD
	v_add_f16_e32 v18, v39, v18
	v_fma_f16 v39, v30, s16, v88
	v_mul_f16_e32 v96, 0x3bb2, v28
	v_add_f16_e32 v19, v39, v19
	v_fma_f16 v39, v66, s16, -v96
	v_mul_f16_e32 v105, 0x35c8, v28
	v_add_f16_e32 v32, v39, v32
	v_fma_f16 v39, v66, s10, -v105
	v_mul_f16_e32 v119, 0xbb29, v28
	v_add_f16_e32 v35, v39, v35
	v_fma_f16 v39, v66, s21, -v119
	v_mul_f16_sdwa v80, v33, s11 dst_sel:DWORD dst_unused:UNUSED_PAD src0_sel:WORD_1 src1_sel:DWORD
	v_add_f16_e32 v37, v39, v37
	v_fma_f16 v39, v34, s16, v80
	v_lshrrev_b32_e32 v68, 16, v34
	v_mul_f16_e32 v87, 0x3836, v33
	;; [unrolled: 19-line block ×4, first 2 shown]
	v_add_f16_e32 v16, v39, v16
	v_fma_f16 v39, v76, s21, -v97
	v_mul_f16_sdwa v101, v40, s27 dst_sel:DWORD dst_unused:UNUSED_PAD src0_sel:WORD_1 src1_sel:DWORD
	v_add_f16_e32 v39, v39, v18
	v_fma_f16 v18, v44, s15, v101
	v_mul_f16_e32 v112, 0xbbf7, v40
	v_add_f16_e32 v18, v18, v19
	v_fma_f16 v19, v76, s15, -v112
	v_mul_f16_e32 v130, 0x3a62, v40
	v_add_f16_e32 v32, v19, v32
	v_fma_f16 v19, v76, s25, -v130
	s_mov_b32 s2, 0x3b7639e9
	v_mul_f16_sdwa v121, v43, s24 dst_sel:DWORD dst_unused:UNUSED_PAD src0_sel:WORD_1 src1_sel:DWORD
	v_add_f16_e32 v42, v19, v35
	s_mov_b32 s3, 0xb964b5c8
	v_pk_mul_f16 v117, v22, s2
	v_fma_f16 v35, v47, s19, v121
	v_lshrrev_b32_e32 v91, 16, v47
	v_mul_f16_e32 v120, 0x35c8, v43
	v_mul_f16_e32 v134, 0xb5c8, v40
	s_mov_b32 s8, 0xbbf7b964
	v_pk_fma_f16 v106, v21, s3, v117 op_sel:[0,0,1] op_sel_hi:[1,1,0]
	v_add_f16_e32 v18, v35, v18
	v_fma_f16 v35, v91, s10, -v120
	v_pk_fma_f16 v122, v21, s3, v117 op_sel:[0,0,1] op_sel_hi:[1,1,0] neg_lo:[1,0,0] neg_hi:[1,0,0]
	v_mul_f16_sdwa v117, v43, s17 dst_sel:DWORD dst_unused:UNUSED_PAD src0_sel:WORD_1 src1_sel:DWORD
	v_fma_f16 v19, v76, s10, -v134
	s_mov_b32 s29, 0x2de839e9
	s_mov_b32 s9, 0x3722b8d2
	v_pk_mul_f16 v123, v25, s8
	v_add_f16_e32 v35, v35, v39
	v_fma_f16 v39, v47, s18, v117
	v_add_f16_e32 v49, v19, v37
	s_mov_b32 s34, 0xba62bb29
	s_mov_b32 s35, 0x2de8bbdd
	v_pk_fma_f16 v107, v23, s29, v123
	v_add_f16_sdwa v19, v106, v0 dst_sel:DWORD dst_unused:UNUSED_PAD src0_sel:WORD_1 src1_sel:DWORD
	v_pk_mul_f16 v124, v27, s9
	v_pk_fma_f16 v123, v23, s29, v123 neg_lo:[0,0,1] neg_hi:[0,0,1]
	v_add_f16_e32 v16, v39, v16
	v_add_f16_sdwa v39, v122, v0 dst_sel:DWORD dst_unused:UNUSED_PAD src0_sel:DWORD src1_sel:WORD_1
	s_mov_b32 s36, 0xb1e1bbf7
	s_mov_b32 s37, 0xb461bacd
	v_add_f16_sdwa v19, v107, v19 dst_sel:DWORD dst_unused:UNUSED_PAD src0_sel:WORD_1 src1_sel:DWORD
	v_pk_fma_f16 v108, v26, s34, v124 op_sel:[0,0,1] op_sel_hi:[1,1,0]
	v_pk_mul_f16 v125, v30, s35
	v_pk_fma_f16 v124, v26, s34, v124 op_sel:[0,0,1] op_sel_hi:[1,1,0] neg_lo:[1,0,0] neg_hi:[1,0,0]
	v_add_f16_e32 v39, v123, v39
	s_mov_b32 s38, 0x3836bbb2
	s_mov_b32 s39, 0xb8d2b461
	v_add_f16_sdwa v19, v108, v19 dst_sel:DWORD dst_unused:UNUSED_PAD src0_sel:WORD_1 src1_sel:DWORD
	v_pk_fma_f16 v109, v28, s36, v125 op_sel:[0,0,1] op_sel_hi:[1,1,0]
	v_pk_mul_f16 v126, v34, s37
	v_pk_fma_f16 v125, v28, s36, v125 op_sel:[0,0,1] op_sel_hi:[1,1,0] neg_lo:[1,0,0] neg_hi:[1,0,0]
	v_add_f16_e32 v39, v124, v39
	s_mov_b32 s40, 0x3bb2ba62
	s_mov_b32 s41, 0xbacd3722
	v_add_f16_sdwa v19, v109, v19 dst_sel:DWORD dst_unused:UNUSED_PAD src0_sel:WORD_1 src1_sel:DWORD
	v_pk_fma_f16 v110, v33, s38, v126 op_sel:[0,0,1] op_sel_hi:[1,1,0]
	v_pk_mul_f16 v127, v38, s39
	v_mul_f16_e32 v133, 0xb836, v43
	s_load_dwordx2 s[8:9], s[4:5], 0x20
	s_nop 0
	s_load_dwordx2 s[4:5], s[4:5], 0x8
	v_pk_fma_f16 v126, v33, s38, v126 op_sel:[0,0,1] op_sel_hi:[1,1,0] neg_lo:[1,0,0] neg_hi:[1,0,0]
	v_add_f16_e32 v39, v125, v39
	s_mov_b32 s42, 0x3b29b836
	s_mov_b32 s43, 0xbbdd3b76
	v_add_f16_sdwa v19, v110, v19 dst_sel:DWORD dst_unused:UNUSED_PAD src0_sel:WORD_1 src1_sel:DWORD
	v_pk_fma_f16 v111, v36, s40, v127 op_sel:[0,0,1] op_sel_hi:[1,1,0]
	v_pk_mul_f16 v128, v44, s41
	v_fma_f16 v37, v91, s19, -v133
	v_mul_f16_e32 v135, 0x3964, v43
	v_pk_fma_f16 v127, v36, s40, v127 op_sel:[0,0,1] op_sel_hi:[1,1,0] neg_lo:[1,0,0] neg_hi:[1,0,0]
	v_add_f16_e32 v39, v126, v39
	s_mov_b32 s44, 0x35c8b1e1
	v_add_f16_sdwa v19, v111, v19 dst_sel:DWORD dst_unused:UNUSED_PAD src0_sel:WORD_1 src1_sel:DWORD
	v_pk_fma_f16 v114, v40, s42, v128 op_sel:[0,0,1] op_sel_hi:[1,1,0]
	v_pk_mul_f16 v129, v47, s43
	v_add_f16_e32 v37, v37, v32
	v_fma_f16 v32, v91, s14, -v135
	v_mul_f16_e32 v136, 0xba62, v43
	v_pk_fma_f16 v128, v40, s42, v128 op_sel:[0,0,1] op_sel_hi:[1,1,0] neg_lo:[1,0,0] neg_hi:[1,0,0]
	v_add_f16_e32 v39, v127, v39
	v_add_f16_sdwa v19, v114, v19 dst_sel:DWORD dst_unused:UNUSED_PAD src0_sel:WORD_1 src1_sel:DWORD
	v_pk_fma_f16 v116, v43, s44, v129 op_sel:[0,0,1] op_sel_hi:[1,1,0]
	v_add_f16_e32 v42, v32, v42
	v_fma_f16 v32, v91, s25, -v136
	v_pk_fma_f16 v129, v43, s44, v129 op_sel:[0,0,1] op_sel_hi:[1,1,0] neg_lo:[1,0,0] neg_hi:[1,0,0]
	v_add_f16_e32 v39, v128, v39
	v_add_f16_sdwa v19, v116, v19 dst_sel:DWORD dst_unused:UNUSED_PAD src0_sel:WORD_1 src1_sel:DWORD
	v_add_f16_e32 v32, v32, v49
	s_movk_i32 s29, 0x3b29
	v_add_f16_e32 v39, v129, v39
	v_mul_lo_u16_e32 v24, 17, v46
	s_waitcnt lgkmcnt(0)
	s_barrier
	s_and_saveexec_b64 s[2:3], s[0:1]
	s_cbranch_execz .LBB0_7
; %bb.6:
	v_mul_f16_e32 v202, 0xb836, v21
	v_fma_f16 v203, v59, s19, v202
	v_mul_f16_e32 v204, 0x3b29, v25
	v_add_f16_sdwa v203, v203, v0 dst_sel:DWORD dst_unused:UNUSED_PAD src0_sel:DWORD src1_sel:WORD_1
	v_fma_f16 v205, v23, s21, v204
	v_add_f16_e32 v203, v205, v203
	v_mul_f16_e32 v205, 0xbbf7, v26
	v_fma_f16 v206, v62, s15, v205
	v_add_f16_e32 v203, v206, v203
	v_mul_f16_e32 v206, 0x3a62, v28
	;; [unrolled: 3-line block ×6, first 2 shown]
	v_fma_f16 v211, v91, s16, v210
	v_add_f16_e32 v203, v211, v203
	v_mul_f16_sdwa v211, v21, s24 dst_sel:DWORD dst_unused:UNUSED_PAD src0_sel:WORD_1 src1_sel:DWORD
	v_fma_f16 v212, v22, s19, -v211
	v_mul_f16_sdwa v213, v25, s29 dst_sel:DWORD dst_unused:UNUSED_PAD src0_sel:WORD_1 src1_sel:DWORD
	v_add_f16_e32 v212, v212, v0
	v_fma_f16 v214, v29, s21, -v213
	v_mul_f16_e32 v142, 0x2de8, v22
	v_add_f16_e32 v212, v214, v212
	v_mul_f16_sdwa v214, v26, s27 dst_sel:DWORD dst_unused:UNUSED_PAD src0_sel:WORD_1 src1_sel:DWORD
	v_mul_f16_e32 v150, 0xbbdd, v29
	v_fma_f16 v215, v27, s15, -v214
	v_sub_f16_e32 v41, v142, v41
	v_mul_f16_e32 v158, 0xb461, v27
	v_add_f16_e32 v212, v215, v212
	v_mul_f16_sdwa v215, v28, s31 dst_sel:DWORD dst_unused:UNUSED_PAD src0_sel:WORD_1 src1_sel:DWORD
	v_add_f16_e32 v41, v41, v0
	v_sub_f16_e32 v50, v150, v50
	v_mul_f16_e32 v166, 0x3b76, v30
	v_fma_f16 v216, v30, s25, -v215
	v_add_f16_e32 v41, v50, v41
	v_sub_f16_e32 v50, v158, v52
	v_mul_f16_e32 v174, 0x3722, v34
	v_add_f16_e32 v212, v216, v212
	v_mul_f16_sdwa v216, v33, s30 dst_sel:DWORD dst_unused:UNUSED_PAD src0_sel:WORD_1 src1_sel:DWORD
	v_add_f16_e32 v41, v50, v41
	v_sub_f16_e32 v50, v166, v54
	v_mul_f16_e32 v182, 0xbacd, v38
	v_fma_f16 v217, v34, s10, -v216
	v_add_f16_e32 v41, v50, v41
	v_sub_f16_e32 v50, v174, v57
	v_alignbit_b32 v137, v0, v0, 16
	v_mul_f16_e32 v190, 0xb8d2, v44
	v_add_f16_e32 v212, v217, v212
	v_mul_f16_sdwa v217, v36, s17 dst_sel:DWORD dst_unused:UNUSED_PAD src0_sel:WORD_1 src1_sel:DWORD
	v_add_f16_e32 v41, v50, v41
	v_sub_f16_e32 v50, v182, v60
	v_alignbit_b32 v56, v56, v56, 16
	v_mul_f16_e32 v198, 0x39e9, v47
	v_fma_f16 v218, v38, s18, -v217
	v_add_f16_e32 v41, v50, v41
	v_sub_f16_e32 v50, v190, v64
	v_pk_add_f16 v1, v1, v137 op_sel:[0,1] op_sel_hi:[1,0]
	v_mul_f16_e32 v141, 0x3722, v59
	v_add_f16_e32 v212, v218, v212
	v_mul_f16_sdwa v218, v40, s20 dst_sel:DWORD dst_unused:UNUSED_PAD src0_sel:WORD_1 src1_sel:DWORD
	v_add_f16_e32 v41, v50, v41
	v_sub_f16_e32 v50, v198, v74
	v_pk_add_f16 v1, v56, v1
	v_mul_f16_e32 v144, 0xb461, v22
	v_mul_f16_e32 v149, 0xb8d2, v23
	v_fma_f16 v219, v44, s14, -v218
	v_add_f16_e32 v41, v50, v41
	v_add_f16_e32 v50, v81, v141
	v_pk_add_f16 v1, v17, v1
	v_mul_f16_e32 v152, 0xbacd, v29
	v_mul_f16_e32 v157, 0xbbdd, v62
	v_add_f16_e32 v212, v219, v212
	v_mul_f16_sdwa v219, v43, s11 dst_sel:DWORD dst_unused:UNUSED_PAD src0_sel:WORD_1 src1_sel:DWORD
	v_sub_f16_e32 v51, v144, v51
	v_add_f16_sdwa v50, v50, v0 dst_sel:DWORD dst_unused:UNUSED_PAD src0_sel:DWORD src1_sel:WORD_1
	v_add_f16_e32 v52, v82, v149
	v_pk_add_f16 v1, v14, v1
	v_fma_f16 v14, v59, s19, -v202
	v_mul_f16_e32 v160, 0x39e9, v27
	v_mul_f16_e32 v165, 0xb461, v66
	v_fma_f16 v220, v47, s16, -v219
	v_add_f16_e32 v51, v51, v0
	v_sub_f16_e32 v53, v152, v53
	v_add_f16_e32 v50, v52, v50
	v_add_f16_e32 v52, v89, v157
	v_pk_add_f16 v1, v15, v1
	v_add_f16_sdwa v14, v14, v0 dst_sel:DWORD dst_unused:UNUSED_PAD src0_sel:DWORD src1_sel:WORD_1
	v_fma_f16 v15, v23, s21, -v204
	v_mul_f16_e32 v168, 0x3722, v30
	v_mul_f16_e32 v173, 0x39e9, v68
	v_add_f16_e32 v212, v220, v212
	v_mul_f16_e32 v220, 0xba62, v21
	v_add_f16_e32 v51, v53, v51
	v_sub_f16_e32 v53, v160, v55
	v_add_f16_e32 v50, v52, v50
	v_add_f16_e32 v52, v96, v165
	;; [unrolled: 1-line block ×3, first 2 shown]
	v_fma_f16 v15, v62, s15, -v205
	v_mul_f16_e32 v176, 0xbbdd, v34
	v_mul_f16_e32 v181, 0x3b76, v72
	v_fma_f16 v221, v59, s25, v220
	v_mul_f16_e32 v222, 0x3bb2, v25
	v_add_f16_e32 v51, v53, v51
	v_sub_f16_e32 v53, v168, v58
	v_add_f16_e32 v50, v52, v50
	v_add_f16_e32 v52, v99, v173
	;; [unrolled: 1-line block ×3, first 2 shown]
	v_fma_f16 v15, v66, s25, -v206
	v_mul_f16_e32 v184, 0x2de8, v38
	v_mul_f16_e32 v189, 0x2de8, v76
	v_add_f16_sdwa v221, v221, v0 dst_sel:DWORD dst_unused:UNUSED_PAD src0_sel:DWORD src1_sel:WORD_1
	v_fma_f16 v223, v23, s16, v222
	v_add_f16_e32 v51, v53, v51
	v_sub_f16_e32 v53, v176, v61
	v_add_f16_e32 v50, v52, v50
	v_add_f16_e32 v52, v103, v181
	;; [unrolled: 1-line block ×3, first 2 shown]
	v_fma_f16 v15, v68, s10, -v207
	v_mul_f16_e32 v192, 0x3b76, v44
	v_mul_f16_e32 v197, 0xbacd, v91
	v_add_f16_e32 v221, v223, v221
	v_mul_f16_e32 v223, 0xb5c8, v26
	v_add_f16_e32 v51, v53, v51
	v_sub_f16_e32 v53, v184, v67
	v_add_f16_e32 v50, v52, v50
	v_add_f16_e32 v52, v112, v189
	;; [unrolled: 1-line block ×3, first 2 shown]
	v_fma_f16 v15, v72, s18, -v208
	v_mul_f16_e32 v140, 0x3722, v22
	v_mul_f16_e32 v200, 0xb8d2, v47
	v_fma_f16 v224, v62, s10, v223
	v_add_f16_e32 v51, v53, v51
	v_sub_f16_e32 v53, v192, v73
	v_add_f16_e32 v50, v52, v50
	v_add_f16_e32 v52, v133, v197
	;; [unrolled: 1-line block ×3, first 2 shown]
	v_fma_f16 v15, v76, s14, -v209
	v_mul_f16_e32 v143, 0x2de8, v59
	v_mul_f16_e32 v148, 0xb8d2, v29
	v_add_f16_e32 v221, v224, v221
	v_mul_f16_e32 v224, 0xb836, v28
	v_add_f16_e32 v51, v53, v51
	v_sub_f16_e32 v53, v200, v86
	v_add_f16_e32 v50, v52, v50
	v_sub_f16_e32 v52, v140, v77
	v_add_f16_e32 v14, v15, v14
	v_fma_f16 v15, v91, s16, -v210
	v_mul_f16_e32 v151, 0xbbdd, v23
	v_mul_f16_e32 v156, 0xbbdd, v27
	v_fma_f16 v225, v66, s19, v224
	v_add_f16_e32 v51, v53, v51
	v_add_f16_e32 v53, v92, v143
	;; [unrolled: 1-line block ×3, first 2 shown]
	v_sub_f16_e32 v54, v148, v78
	v_add_f16_e32 v14, v15, v14
	v_fma_f16 v15, v22, s19, v211
	v_mul_f16_e32 v159, 0xb461, v62
	v_mul_f16_e32 v164, 0xb461, v30
	v_add_f16_e32 v221, v225, v221
	v_mul_f16_e32 v225, 0x3bf7, v33
	v_add_f16_sdwa v53, v53, v0 dst_sel:DWORD dst_unused:UNUSED_PAD src0_sel:DWORD src1_sel:WORD_1
	v_add_f16_e32 v55, v94, v151
	v_add_f16_e32 v52, v54, v52
	v_sub_f16_e32 v54, v156, v84
	v_add_f16_e32 v15, v15, v0
	v_fma_f16 v17, v29, s21, v213
	v_mul_f16_e32 v167, 0x3b76, v66
	v_mul_f16_e32 v172, 0x39e9, v34
	v_fma_f16 v226, v68, s15, v225
	v_add_f16_e32 v53, v55, v53
	v_add_f16_e32 v55, v100, v159
	;; [unrolled: 1-line block ×3, first 2 shown]
	v_sub_f16_e32 v54, v164, v88
	v_add_f16_e32 v15, v17, v15
	v_fma_f16 v17, v27, s15, v214
	v_mul_f16_e32 v175, 0x3722, v68
	v_mul_f16_e32 v180, 0x3b76, v38
	v_add_f16_e32 v221, v226, v221
	v_mul_f16_e32 v226, 0xb964, v36
	v_add_f16_e32 v53, v55, v53
	v_add_f16_e32 v55, v105, v167
	;; [unrolled: 1-line block ×3, first 2 shown]
	v_sub_f16_e32 v54, v172, v95
	v_add_f16_e32 v15, v17, v15
	v_fma_f16 v17, v30, s25, v215
	v_mul_f16_e32 v183, 0xbacd, v72
	v_mul_f16_e32 v188, 0x2de8, v44
	v_fma_f16 v227, v72, s14, v226
	v_add_f16_e32 v53, v55, v53
	v_add_f16_e32 v55, v113, v175
	;; [unrolled: 1-line block ×3, first 2 shown]
	v_sub_f16_e32 v54, v180, v98
	v_add_f16_e32 v15, v17, v15
	v_fma_f16 v17, v34, s10, v216
	v_mul_f16_e32 v191, 0xb8d2, v76
	v_mul_f16_e32 v196, 0xbacd, v47
	v_add_f16_e32 v221, v227, v221
	v_mul_f16_e32 v227, 0xb1e1, v40
	v_add_f16_e32 v53, v55, v53
	v_add_f16_e32 v55, v118, v183
	;; [unrolled: 1-line block ×3, first 2 shown]
	v_sub_f16_e32 v54, v188, v101
	v_add_f16_e32 v15, v17, v15
	v_fma_f16 v17, v38, s18, v217
	v_mul_f16_e32 v139, 0x39e9, v59
	v_mul_f16_e32 v199, 0x39e9, v91
	v_fma_f16 v228, v76, s18, v227
	v_add_f16_e32 v53, v55, v53
	v_add_f16_e32 v55, v130, v191
	;; [unrolled: 1-line block ×3, first 2 shown]
	v_sub_f16_e32 v54, v196, v121
	v_add_f16_e32 v15, v17, v15
	v_fma_f16 v17, v44, s14, v218
	v_mul_f16_e32 v147, 0x2de8, v23
	v_add_f16_e32 v221, v228, v221
	v_mul_f16_e32 v228, 0x3b29, v43
	v_add_f16_e32 v53, v55, v53
	v_add_f16_e32 v55, v135, v199
	;; [unrolled: 1-line block ×5, first 2 shown]
	v_fma_f16 v17, v47, s16, v219
	v_mul_f16_e32 v155, 0xb8d2, v62
	v_fma_f16 v229, v91, s21, v228
	v_add_f16_e32 v53, v55, v53
	v_add_f16_sdwa v54, v54, v0 dst_sel:DWORD dst_unused:UNUSED_PAD src0_sel:DWORD src1_sel:WORD_1
	v_add_f16_e32 v55, v70, v147
	v_add_f16_e32 v15, v17, v15
	v_fma_f16 v17, v59, s25, -v220
	v_mul_f16_e32 v163, 0xbbdd, v66
	v_add_f16_e32 v221, v229, v221
	v_mul_f16_sdwa v229, v21, s26 dst_sel:DWORD dst_unused:UNUSED_PAD src0_sel:WORD_1 src1_sel:DWORD
	v_add_f16_e32 v54, v55, v54
	v_add_f16_e32 v55, v79, v155
	v_add_f16_sdwa v17, v17, v0 dst_sel:DWORD dst_unused:UNUSED_PAD src0_sel:DWORD src1_sel:WORD_1
	v_fma_f16 v56, v23, s16, -v222
	v_mul_f16_e32 v171, 0xbacd, v68
	v_fma_f16 v230, v22, s25, -v229
	v_mul_f16_sdwa v231, v25, s28 dst_sel:DWORD dst_unused:UNUSED_PAD src0_sel:WORD_1 src1_sel:DWORD
	v_add_f16_e32 v54, v55, v54
	v_add_f16_e32 v55, v83, v163
	;; [unrolled: 1-line block ×3, first 2 shown]
	v_fma_f16 v56, v62, s10, -v223
	v_pk_add_f16 v1, v6, v1
	v_mul_f16_e32 v179, 0xb461, v72
	v_add_f16_e32 v230, v230, v0
	v_fma_f16 v232, v29, s16, -v231
	v_add_f16_e32 v54, v55, v54
	v_add_f16_e32 v55, v87, v171
	;; [unrolled: 1-line block ×3, first 2 shown]
	v_fma_f16 v56, v66, s19, -v224
	v_pk_add_f16 v1, v7, v1
	v_mul_f16_e32 v187, 0x3722, v76
	v_add_f16_e32 v230, v232, v230
	v_mul_f16_sdwa v232, v26, s30 dst_sel:DWORD dst_unused:UNUSED_PAD src0_sel:WORD_1 src1_sel:DWORD
	v_add_f16_e32 v54, v55, v54
	v_add_f16_e32 v55, v93, v179
	;; [unrolled: 1-line block ×3, first 2 shown]
	v_fma_f16 v56, v68, s15, -v225
	v_pk_add_f16 v1, v8, v1
	v_mul_f16_e32 v195, 0x3b76, v91
	v_fma_f16 v233, v27, s10, -v232
	v_add_f16_e32 v54, v55, v54
	v_add_f16_e32 v55, v97, v187
	v_add_f16_e32 v17, v56, v17
	v_fma_f16 v56, v72, s14, -v226
	v_pk_add_f16 v1, v9, v1
	v_mul_f16_e32 v138, 0x3b76, v22
	v_add_f16_e32 v230, v233, v230
	v_mul_f16_sdwa v233, v28, s24 dst_sel:DWORD dst_unused:UNUSED_PAD src0_sel:WORD_1 src1_sel:DWORD
	v_add_f16_e32 v54, v55, v54
	v_add_f16_e32 v55, v120, v195
	s_mov_b32 s27, 0xffff
	v_add_f16_e32 v17, v56, v17
	v_fma_f16 v56, v76, s18, -v227
	v_pk_add_f16 v1, v10, v1
	v_mul_f16_e32 v145, 0xb461, v59
	v_mul_f16_e32 v146, 0x39e9, v29
	v_fma_f16 v234, v30, s19, -v233
	v_add_f16_e32 v54, v55, v54
	v_bfi_b32 v55, s27, v106, v122
	v_sub_f16_e32 v63, v138, v63
	v_add_f16_e32 v17, v56, v17
	v_fma_f16 v56, v91, s21, -v228
	v_pk_add_f16 v1, v11, v1
	v_mul_f16_e32 v154, 0x3722, v27
	v_add_f16_e32 v230, v234, v230
	v_mul_f16_sdwa v234, v33, s23 dst_sel:DWORD dst_unused:UNUSED_PAD src0_sel:WORD_1 src1_sel:DWORD
	v_add_f16_e32 v102, v102, v145
	v_bfi_b32 v57, s27, v107, v123
	v_add_f16_e32 v63, v63, v0
	v_sub_f16_e32 v65, v146, v65
	v_add_f16_e32 v17, v56, v17
	v_fma_f16 v56, v22, s25, v229
	v_pk_add_f16 v1, v2, v1
	v_pk_add_f16 v2, v55, v137
	v_mul_f16_e32 v153, 0xbacd, v23
	v_mul_f16_e32 v162, 0x2de8, v30
	v_fma_f16 v235, v34, s15, -v234
	v_add_f16_sdwa v102, v102, v0 dst_sel:DWORD dst_unused:UNUSED_PAD src0_sel:DWORD src1_sel:WORD_1
	v_bfi_b32 v58, s27, v108, v124
	v_add_f16_e32 v63, v65, v63
	v_sub_f16_e32 v65, v154, v71
	v_add_f16_e32 v0, v56, v0
	v_fma_f16 v29, v29, s16, v231
	v_pk_add_f16 v2, v57, v2
	v_mul_f16_e32 v161, 0x39e9, v62
	v_mul_f16_e32 v170, 0xb461, v34
	v_add_f16_e32 v230, v235, v230
	v_mul_f16_sdwa v235, v36, s33 dst_sel:DWORD dst_unused:UNUSED_PAD src0_sel:WORD_1 src1_sel:DWORD
	v_add_f16_e32 v104, v104, v153
	v_bfi_b32 v60, s27, v109, v125
	v_add_f16_e32 v63, v65, v63
	v_sub_f16_e32 v65, v162, v75
	v_add_f16_e32 v0, v29, v0
	v_fma_f16 v29, v27, s10, v232
	v_pk_add_f16 v2, v58, v2
	v_mul_f16_e32 v169, 0x3722, v66
	v_mul_f16_e32 v178, 0xb8d2, v38
	v_fma_f16 v236, v38, s14, -v235
	v_add_f16_e32 v102, v104, v102
	v_add_f16_e32 v104, v115, v161
	v_bfi_b32 v61, s27, v110, v126
	v_add_f16_e32 v63, v65, v63
	v_sub_f16_e32 v65, v170, v80
	v_add_f16_e32 v0, v29, v0
	v_fma_f16 v29, v30, s19, v233
	v_pk_add_f16 v2, v60, v2
	v_mul_f16_e32 v177, 0xbbdd, v68
	v_mul_f16_e32 v186, 0xbacd, v44
	v_add_f16_e32 v230, v236, v230
	v_mul_f16_sdwa v236, v40, s17 dst_sel:DWORD dst_unused:UNUSED_PAD src0_sel:WORD_1 src1_sel:DWORD
	v_add_f16_e32 v102, v104, v102
	v_add_f16_e32 v104, v119, v169
	v_bfi_b32 v64, s27, v111, v127
	v_add_f16_e32 v63, v65, v63
	v_sub_f16_e32 v65, v178, v85
	v_add_f16_e32 v0, v29, v0
	v_fma_f16 v29, v34, s15, v234
	v_pk_add_f16 v2, v61, v2
	v_mul_f16_e32 v185, 0x2de8, v72
	v_mul_f16_e32 v194, 0xbbdd, v47
	v_fma_f16 v237, v44, s18, -v236
	v_add_f16_e32 v102, v104, v102
	v_add_f16_e32 v104, v131, v177
	v_bfi_b32 v67, s27, v114, v128
	v_add_f16_e32 v63, v65, v63
	v_sub_f16_e32 v65, v186, v90
	v_add_f16_e32 v0, v29, v0
	v_fma_f16 v29, v38, s14, v235
	v_pk_add_f16 v2, v64, v2
	v_mul_f16_e32 v193, 0x3b76, v76
	v_add_f16_e32 v230, v237, v230
	v_mul_f16_sdwa v237, v43, s29 dst_sel:DWORD dst_unused:UNUSED_PAD src0_sel:WORD_1 src1_sel:DWORD
	v_add_f16_e32 v102, v104, v102
	v_add_f16_e32 v104, v132, v185
	v_bfi_b32 v69, s27, v116, v129
	v_add_f16_e32 v63, v65, v63
	v_sub_f16_e32 v65, v194, v117
	v_add_f16_e32 v0, v29, v0
	v_fma_f16 v29, v44, s18, v236
	v_pk_add_f16 v2, v67, v2
	v_mul_f16_e32 v201, 0xb8d2, v91
	v_add_f16_e32 v102, v104, v102
	v_add_f16_e32 v104, v134, v193
	;; [unrolled: 1-line block ×4, first 2 shown]
	v_fma_f16 v29, v47, s21, v237
	v_pk_add_f16 v2, v69, v2
	v_fma_f16 v238, v47, s21, -v237
	v_add_f16_e32 v102, v104, v102
	v_add_f16_e32 v104, v136, v201
	;; [unrolled: 1-line block ×3, first 2 shown]
	v_add_lshl_u32 v29, v31, v24, 2
	v_pk_add_f16 v1, v3, v1
	v_alignbit_b32 v3, v54, v2, 16
	v_pack_b32_f16 v2, v63, v2
	v_add_f16_e32 v230, v238, v230
	v_add_f16_e32 v102, v104, v102
	v_pk_add_f16 v1, v4, v1
	ds_write2_b32 v29, v2, v3 offset0:1 offset1:2
	v_pack_b32_f16 v2, v41, v53
	v_pack_b32_f16 v3, v52, v50
	v_pk_add_f16 v1, v5, v1
	ds_write2_b32 v29, v3, v2 offset0:3 offset1:4
	v_pack_b32_f16 v2, v51, v102
	v_pack_b32_f16 v3, v230, v221
	v_pk_add_f16 v1, v20, v1
	ds_write2_b32 v29, v2, v3 offset0:5 offset1:6
	v_pack_b32_f16 v2, v212, v203
	ds_write2_b32 v29, v1, v2 offset1:7
	v_pk_mul_f16 v1, v22, s18 op_sel_hi:[1,0]
	v_pk_fma_f16 v2, v21, s17, v1 op_sel:[0,0,1] op_sel_hi:[1,0,0] neg_lo:[1,0,0] neg_hi:[1,0,0]
	v_pk_mul_f16 v3, v25, s22 op_sel_hi:[1,0]
	v_pk_add_f16 v2, v2, v137
	v_pk_fma_f16 v4, v23, s10, v3 op_sel_hi:[1,0,1] neg_lo:[0,0,1] neg_hi:[0,0,1]
	v_pk_add_f16 v2, v4, v2
	v_pk_mul_f16 v4, v27, s19 op_sel_hi:[1,0]
	v_pk_fma_f16 v5, v26, s24, v4 op_sel:[0,0,1] op_sel_hi:[1,0,0] neg_lo:[1,0,0] neg_hi:[1,0,0]
	v_pk_add_f16 v2, v5, v2
	v_pk_mul_f16 v5, v30, s14 op_sel_hi:[1,0]
	v_pk_fma_f16 v6, v28, s20, v5 op_sel:[0,0,1] op_sel_hi:[1,0,0] neg_lo:[1,0,0] neg_hi:[1,0,0]
	v_pk_add_f16 v2, v6, v2
	v_pk_mul_f16 v6, v34, s25 op_sel_hi:[1,0]
	v_pk_fma_f16 v1, v21, s17, v1 op_sel:[0,0,1] op_sel_hi:[1,0,0]
	v_pk_fma_f16 v7, v33, s26, v6 op_sel:[0,0,1] op_sel_hi:[1,0,0] neg_lo:[1,0,0] neg_hi:[1,0,0]
	v_pk_add_f16 v1, v1, v137
	v_pk_fma_f16 v3, v23, s10, v3 op_sel_hi:[1,0,1]
	v_pk_add_f16 v2, v7, v2
	v_pk_mul_f16 v7, v38, s21 op_sel_hi:[1,0]
	v_pk_add_f16 v1, v3, v1
	v_pk_fma_f16 v3, v26, s24, v4 op_sel:[0,0,1] op_sel_hi:[1,0,0]
	v_pk_fma_f16 v8, v36, s29, v7 op_sel:[0,0,1] op_sel_hi:[1,0,0] neg_lo:[1,0,0] neg_hi:[1,0,0]
	v_pk_add_f16 v1, v3, v1
	v_pk_fma_f16 v3, v28, s20, v5 op_sel:[0,0,1] op_sel_hi:[1,0,0]
	v_pk_add_f16 v2, v8, v2
	v_pk_mul_f16 v8, v44, s16 op_sel_hi:[1,0]
	v_pk_add_f16 v1, v3, v1
	v_pk_fma_f16 v3, v33, s26, v6 op_sel:[0,0,1] op_sel_hi:[1,0,0]
	v_pk_fma_f16 v9, v40, s11, v8 op_sel:[0,0,1] op_sel_hi:[1,0,0] neg_lo:[1,0,0] neg_hi:[1,0,0]
	v_pk_add_f16 v1, v3, v1
	v_pk_fma_f16 v3, v36, s29, v7 op_sel:[0,0,1] op_sel_hi:[1,0,0]
	;; [unrolled: 7-line block ×3, first 2 shown]
	v_pk_add_f16 v2, v10, v2
	v_pk_add_f16 v1, v3, v1
	v_alignbit_b32 v3, v2, v1, 16
	v_alignbit_b32 v1, v1, v2, 16
	ds_write2_b32 v29, v1, v3 offset0:8 offset1:9
	v_pack_b32_f16 v0, v0, v17
	v_pack_b32_f16 v1, v15, v14
	s_mov_b32 s10, 0x5040100
	ds_write2_b32 v29, v1, v0 offset0:10 offset1:11
	v_perm_b32 v0, v42, v13, s10
	v_perm_b32 v1, v32, v12, s10
	ds_write2_b32 v29, v1, v0 offset0:12 offset1:13
	v_perm_b32 v0, v35, v19, s10
	v_perm_b32 v1, v37, v18, s10
	ds_write2_b32 v29, v1, v0 offset0:14 offset1:15
	v_perm_b32 v0, v39, v16, s10
	ds_write_b32 v29, v0 offset:64
.LBB0_7:
	s_or_b64 exec, exec, s[2:3]
	v_add_lshl_u32 v50, v31, v46, 2
	v_add_u32_e32 v0, 0x200, v50
	s_waitcnt lgkmcnt(0)
	s_barrier
	ds_read2_b32 v[20:21], v0 offset0:93 offset1:195
	v_add_u32_e32 v0, 0x600, v50
	ds_read2_b32 v[22:23], v0 offset0:58 offset1:160
	v_add_u32_e32 v0, 0x800, v50
	;; [unrolled: 2-line block ×4, first 2 shown]
	ds_read2_b32 v[14:15], v50 offset1:102
	ds_read2_b32 v[29:30], v0 offset0:81 offset1:183
	v_cmp_gt_u16_e64 s[2:3], 17, v46
                                        ; implicit-def: $vgpr33
	s_and_saveexec_b64 s[10:11], s[2:3]
	s_cbranch_execz .LBB0_9
; %bb.8:
	v_add_u32_e32 v0, 0x300, v50
	ds_read2_b32 v[12:13], v0 offset0:12 offset1:233
	v_add_u32_e32 v0, 0xa00, v50
	ds_read2_b32 v[18:19], v0 offset0:6 offset1:227
	v_add_u32_e32 v0, 0x1100, v50
	ds_read2_b32 v[16:17], v0 offset1:221
	s_waitcnt lgkmcnt(2)
	v_lshrrev_b32_e32 v32, 16, v12
	v_lshrrev_b32_e32 v42, 16, v13
	s_waitcnt lgkmcnt(1)
	v_lshrrev_b32_e32 v37, 16, v18
	v_lshrrev_b32_e32 v35, 16, v19
	;; [unrolled: 3-line block ×3, first 2 shown]
.LBB0_9:
	s_or_b64 exec, exec, s[10:11]
	s_movk_i32 s14, 0xf1
	v_mul_lo_u16_sdwa v0, v46, s14 dst_sel:DWORD dst_unused:UNUSED_PAD src0_sel:BYTE_0 src1_sel:DWORD
	v_lshrrev_b16_e32 v34, 12, v0
	v_mul_lo_u16_e32 v0, 17, v34
	v_sub_u16_e32 v0, v46, v0
	v_and_b32_e32 v36, 0xff, v0
	v_add_u32_e32 v0, 0xcc, v46
	s_mov_b32 s10, 0xf0f1
	v_mul_u32_u24_sdwa v1, v0, s10 dst_sel:DWORD dst_unused:UNUSED_PAD src0_sel:WORD_0 src1_sel:DWORD
	v_add_u16_e32 v4, 0x66, v46
	v_lshrrev_b32_e32 v1, 20, v1
	v_mul_lo_u16_sdwa v5, v4, s14 dst_sel:DWORD dst_unused:UNUSED_PAD src0_sel:BYTE_0 src1_sel:DWORD
	v_mul_lo_u16_e32 v1, 17, v1
	v_lshrrev_b16_e32 v38, 12, v5
	v_sub_u16_e32 v237, v0, v1
	v_mul_lo_u16_e32 v5, 17, v38
	v_mul_lo_u16_e32 v0, 20, v237
	v_mad_u64_u32 v[43:44], s[10:11], v36, 20, s[4:5]
	v_sub_u16_e32 v4, v4, v5
	v_mov_b32_e32 v1, s5
	v_add_co_u32_e32 v40, vcc, s4, v0
	v_and_b32_e32 v47, 0xff, v4
	v_addc_co_u32_e32 v41, vcc, 0, v1, vcc
	v_mad_u64_u32 v[55:56], s[10:11], v47, 20, s[4:5]
	global_load_dwordx4 v[0:3], v[40:41], off
	global_load_dwordx4 v[8:11], v[43:44], off
	global_load_dword v54, v[43:44], off offset:16
	global_load_dwordx4 v[4:7], v[55:56], off
	global_load_dword v53, v[55:56], off offset:16
	global_load_dword v52, v[40:41], off offset:16
	s_waitcnt lgkmcnt(5)
	v_lshrrev_b32_e32 v41, 16, v20
	s_waitcnt lgkmcnt(4)
	v_lshrrev_b32_e32 v43, 16, v22
	;; [unrolled: 2-line block ×5, first 2 shown]
	v_lshrrev_b32_e32 v58, 16, v21
	v_lshrrev_b32_e32 v59, 16, v23
	v_lshrrev_b32_e32 v60, 16, v26
	v_lshrrev_b32_e32 v61, 16, v28
	v_lshrrev_b32_e32 v62, 16, v30
	v_lshrrev_b32_e32 v40, 16, v14
	s_movk_i32 s14, 0x3aee
	s_mov_b32 s15, 0xbaee
	v_lshrrev_b32_e32 v57, 16, v15
	s_load_dwordx4 s[8:11], s[8:9], 0x0
	s_waitcnt vmcnt(0) lgkmcnt(0)
	s_barrier
	v_mul_f16_sdwa v73, v29, v54 dst_sel:DWORD dst_unused:UNUSED_PAD src0_sel:DWORD src1_sel:WORD_1
	v_mul_f16_sdwa v63, v42, v0 dst_sel:DWORD dst_unused:UNUSED_PAD src0_sel:DWORD src1_sel:WORD_1
	;; [unrolled: 1-line block ×4, first 2 shown]
	v_fma_f16 v63, v13, v0, -v63
	v_fma_f16 v42, v42, v0, v64
	v_mul_f16_sdwa v13, v41, v8 dst_sel:DWORD dst_unused:UNUSED_PAD src0_sel:DWORD src1_sel:WORD_1
	v_mul_f16_sdwa v64, v20, v8 dst_sel:DWORD dst_unused:UNUSED_PAD src0_sel:DWORD src1_sel:WORD_1
	v_mul_f16_sdwa v67, v22, v9 dst_sel:DWORD dst_unused:UNUSED_PAD src0_sel:DWORD src1_sel:WORD_1
	v_mul_f16_sdwa v69, v25, v10 dst_sel:DWORD dst_unused:UNUSED_PAD src0_sel:DWORD src1_sel:WORD_1
	v_mul_f16_sdwa v71, v27, v11 dst_sel:DWORD dst_unused:UNUSED_PAD src0_sel:DWORD src1_sel:WORD_1
	v_mul_f16_sdwa v75, v21, v4 dst_sel:DWORD dst_unused:UNUSED_PAD src0_sel:DWORD src1_sel:WORD_1
	v_mul_f16_sdwa v77, v23, v5 dst_sel:DWORD dst_unused:UNUSED_PAD src0_sel:DWORD src1_sel:WORD_1
	v_mul_f16_sdwa v79, v26, v6 dst_sel:DWORD dst_unused:UNUSED_PAD src0_sel:DWORD src1_sel:WORD_1
	v_mul_f16_sdwa v81, v28, v7 dst_sel:DWORD dst_unused:UNUSED_PAD src0_sel:DWORD src1_sel:WORD_1
	v_mul_f16_sdwa v83, v30, v53 dst_sel:DWORD dst_unused:UNUSED_PAD src0_sel:DWORD src1_sel:WORD_1
	v_mul_f16_sdwa v66, v43, v9 dst_sel:DWORD dst_unused:UNUSED_PAD src0_sel:DWORD src1_sel:WORD_1
	v_mul_f16_sdwa v68, v44, v10 dst_sel:DWORD dst_unused:UNUSED_PAD src0_sel:DWORD src1_sel:WORD_1
	v_mul_f16_sdwa v70, v55, v11 dst_sel:DWORD dst_unused:UNUSED_PAD src0_sel:DWORD src1_sel:WORD_1
	v_mul_f16_sdwa v72, v56, v54 dst_sel:DWORD dst_unused:UNUSED_PAD src0_sel:DWORD src1_sel:WORD_1
	v_mul_f16_sdwa v74, v58, v4 dst_sel:DWORD dst_unused:UNUSED_PAD src0_sel:DWORD src1_sel:WORD_1
	v_mul_f16_sdwa v76, v59, v5 dst_sel:DWORD dst_unused:UNUSED_PAD src0_sel:DWORD src1_sel:WORD_1
	v_mul_f16_sdwa v78, v60, v6 dst_sel:DWORD dst_unused:UNUSED_PAD src0_sel:DWORD src1_sel:WORD_1
	v_mul_f16_sdwa v80, v61, v7 dst_sel:DWORD dst_unused:UNUSED_PAD src0_sel:DWORD src1_sel:WORD_1
	v_mul_f16_sdwa v82, v62, v53 dst_sel:DWORD dst_unused:UNUSED_PAD src0_sel:DWORD src1_sel:WORD_1
	v_fma_f16 v13, v20, v8, -v13
	v_fma_f16 v20, v41, v8, v64
	v_fma_f16 v41, v43, v9, v67
	;; [unrolled: 1-line block ×10, first 2 shown]
	v_fma_f16 v62, v18, v1, -v65
	v_mul_f16_sdwa v18, v18, v1 dst_sel:DWORD dst_unused:UNUSED_PAD src0_sel:DWORD src1_sel:WORD_1
	v_fma_f16 v18, v37, v1, v18
	v_mul_f16_sdwa v37, v35, v2 dst_sel:DWORD dst_unused:UNUSED_PAD src0_sel:DWORD src1_sel:WORD_1
	v_fma_f16 v37, v19, v2, -v37
	v_mul_f16_sdwa v19, v19, v2 dst_sel:DWORD dst_unused:UNUSED_PAD src0_sel:DWORD src1_sel:WORD_1
	v_fma_f16 v19, v35, v2, v19
	v_mul_f16_sdwa v35, v39, v3 dst_sel:DWORD dst_unused:UNUSED_PAD src0_sel:DWORD src1_sel:WORD_1
	v_fma_f16 v35, v16, v3, -v35
	v_mul_f16_sdwa v16, v16, v3 dst_sel:DWORD dst_unused:UNUSED_PAD src0_sel:DWORD src1_sel:WORD_1
	v_fma_f16 v22, v22, v9, -v66
	v_fma_f16 v27, v27, v11, -v70
	v_fma_f16 v16, v39, v3, v16
	v_mul_f16_sdwa v39, v33, v52 dst_sel:DWORD dst_unused:UNUSED_PAD src0_sel:DWORD src1_sel:WORD_1
	v_fma_f16 v39, v17, v52, -v39
	v_mul_f16_sdwa v17, v17, v52 dst_sel:DWORD dst_unused:UNUSED_PAD src0_sel:DWORD src1_sel:WORD_1
	v_add_f16_e32 v64, v22, v27
	v_fma_f16 v17, v33, v52, v17
	v_add_f16_e32 v33, v14, v22
	v_fma_f16 v14, v64, -0.5, v14
	v_sub_f16_e32 v64, v41, v44
	v_fma_f16 v25, v25, v10, -v68
	v_fma_f16 v29, v29, v54, -v72
	v_fma_f16 v65, v64, s14, v14
	v_fma_f16 v14, v64, s15, v14
	v_add_f16_e32 v64, v40, v41
	v_add_f16_e32 v41, v41, v44
	v_fma_f16 v40, v41, -0.5, v40
	v_sub_f16_e32 v22, v22, v27
	v_add_f16_e32 v41, v25, v29
	v_add_f16_e32 v33, v33, v27
	v_fma_f16 v27, v22, s15, v40
	v_fma_f16 v22, v22, s14, v40
	v_add_f16_e32 v40, v13, v25
	v_fma_f16 v13, v41, -0.5, v13
	v_sub_f16_e32 v41, v43, v55
	v_add_f16_e32 v64, v64, v44
	v_fma_f16 v44, v41, s14, v13
	v_fma_f16 v13, v41, s15, v13
	v_add_f16_e32 v41, v20, v43
	v_add_f16_e32 v43, v43, v55
	v_fma_f16 v20, v43, -0.5, v20
	v_sub_f16_e32 v25, v25, v29
	v_add_f16_e32 v40, v40, v29
	v_fma_f16 v29, v25, s15, v20
	v_fma_f16 v20, v25, s14, v20
	v_mul_f16_e32 v25, 0x3aee, v29
	v_add_f16_e32 v41, v41, v55
	v_fma_f16 v25, v44, 0.5, v25
	v_mul_f16_e32 v55, -0.5, v13
	v_mul_f16_e32 v44, 0xbaee, v44
	v_fma_f16 v23, v23, v5, -v76
	v_fma_f16 v28, v28, v7, -v80
	v_fma_f16 v55, v20, s14, v55
	v_fma_f16 v29, v29, 0.5, v44
	v_mul_f16_e32 v20, -0.5, v20
	v_fma_f16 v26, v26, v6, -v78
	v_fma_f16 v30, v30, v53, -v82
	v_add_f16_e32 v43, v33, v40
	v_add_f16_e32 v66, v65, v25
	v_add_f16_e32 v67, v14, v55
	v_add_f16_e32 v44, v27, v29
	v_fma_f16 v13, v13, s15, v20
	v_sub_f16_e32 v33, v33, v40
	v_sub_f16_e32 v40, v65, v25
	;; [unrolled: 1-line block ×4, first 2 shown]
	v_add_f16_e32 v14, v23, v28
	v_add_f16_e32 v27, v58, v60
	v_fma_f16 v21, v21, v4, -v74
	v_add_f16_e32 v20, v22, v13
	v_sub_f16_e32 v22, v22, v13
	v_add_f16_e32 v13, v15, v23
	v_fma_f16 v14, v14, -0.5, v15
	v_sub_f16_e32 v15, v58, v60
	v_fma_f16 v27, v27, -0.5, v57
	v_sub_f16_e32 v23, v23, v28
	v_add_f16_e32 v55, v26, v30
	v_add_f16_e32 v13, v13, v28
	v_fma_f16 v25, v15, s14, v14
	v_fma_f16 v14, v15, s15, v14
	v_add_f16_e32 v15, v57, v58
	v_fma_f16 v28, v23, s15, v27
	v_fma_f16 v23, v23, s14, v27
	v_add_f16_e32 v27, v21, v26
	v_fma_f16 v21, v55, -0.5, v21
	v_sub_f16_e32 v55, v59, v61
	v_add_f16_e32 v58, v59, v61
	v_fma_f16 v57, v55, s14, v21
	v_fma_f16 v21, v55, s15, v21
	v_add_f16_e32 v55, v56, v59
	v_fma_f16 v56, v58, -0.5, v56
	v_sub_f16_e32 v26, v26, v30
	v_add_f16_e32 v27, v27, v30
	v_fma_f16 v30, v26, s15, v56
	v_fma_f16 v26, v26, s14, v56
	v_mul_f16_e32 v58, -0.5, v21
	v_fma_f16 v58, v26, s14, v58
	v_add_f16_e32 v70, v14, v58
	v_mul_f16_e32 v26, -0.5, v26
	v_sub_f16_e32 v76, v14, v58
	v_add_f16_e32 v14, v62, v35
	v_add_f16_e32 v68, v64, v41
	v_sub_f16_e32 v41, v64, v41
	v_add_f16_e32 v15, v15, v60
	v_add_f16_e32 v55, v55, v61
	;; [unrolled: 1-line block ×3, first 2 shown]
	v_fma_f16 v21, v21, s15, v26
	v_sub_f16_e32 v74, v13, v27
	v_add_f16_e32 v13, v12, v62
	v_fma_f16 v12, v14, -0.5, v12
	v_sub_f16_e32 v14, v18, v16
	v_add_f16_e32 v71, v15, v55
	v_add_f16_e32 v73, v23, v21
	v_sub_f16_e32 v77, v15, v55
	v_sub_f16_e32 v21, v23, v21
	v_fma_f16 v23, v14, s14, v12
	v_fma_f16 v55, v14, s15, v12
	v_add_f16_e32 v14, v18, v16
	v_mul_f16_e32 v56, 0x3aee, v30
	v_add_f16_e32 v12, v32, v18
	v_fma_f16 v14, v14, -0.5, v32
	v_sub_f16_e32 v15, v62, v35
	v_fma_f16 v56, v57, 0.5, v56
	v_mul_f16_e32 v57, 0xbaee, v57
	v_add_f16_e32 v12, v12, v16
	v_fma_f16 v16, v15, s15, v14
	v_fma_f16 v18, v15, s14, v14
	v_add_f16_e32 v15, v37, v39
	v_add_f16_e32 v69, v25, v56
	v_fma_f16 v30, v30, 0.5, v57
	v_sub_f16_e32 v75, v25, v56
	v_fma_f16 v15, v15, -0.5, v63
	v_sub_f16_e32 v25, v19, v17
	v_add_f16_e32 v72, v28, v30
	v_sub_f16_e32 v30, v28, v30
	v_fma_f16 v27, v25, s14, v15
	v_fma_f16 v28, v25, s15, v15
	v_add_f16_e32 v15, v42, v19
	v_add_f16_e32 v15, v15, v17
	;; [unrolled: 1-line block ×3, first 2 shown]
	v_fma_f16 v17, v17, -0.5, v42
	v_sub_f16_e32 v19, v37, v39
	v_fma_f16 v32, v19, s15, v17
	v_fma_f16 v17, v19, s14, v17
	v_mul_f16_e32 v19, 0x3aee, v32
	v_fma_f16 v19, v27, 0.5, v19
	v_mul_f16_e32 v27, 0xbaee, v27
	v_mul_f16_e32 v26, -0.5, v28
	v_fma_f16 v32, v32, 0.5, v27
	v_add_f16_e32 v13, v13, v35
	v_fma_f16 v35, v17, s14, v26
	v_add_f16_e32 v59, v16, v32
	v_mul_f16_e32 v17, -0.5, v17
	v_sub_f16_e32 v62, v16, v32
	v_mul_u32_u24_e32 v16, 0x66, v34
	v_fma_f16 v17, v28, s15, v17
	v_add_u32_e32 v16, v16, v36
	v_add_f16_e32 v26, v55, v35
	v_add_f16_e32 v60, v18, v17
	v_sub_f16_e32 v228, v55, v35
	v_sub_f16_e32 v55, v18, v17
	v_add_lshl_u32 v57, v31, v16, 2
	v_pack_b32_f16 v16, v43, v68
	v_pack_b32_f16 v17, v66, v44
	ds_write2_b32 v57, v16, v17 offset1:17
	v_pack_b32_f16 v16, v67, v20
	v_pack_b32_f16 v17, v33, v41
	ds_write2_b32 v57, v16, v17 offset0:34 offset1:51
	v_pack_b32_f16 v16, v40, v29
	v_pack_b32_f16 v17, v65, v22
	ds_write2_b32 v57, v16, v17 offset0:68 offset1:85
	v_mul_u32_u24_e32 v16, 0x66, v38
	v_add_u32_e32 v16, v16, v47
	v_add_f16_e32 v14, v63, v37
	v_add_lshl_u32 v58, v31, v16, 2
	v_pack_b32_f16 v16, v64, v71
	v_pack_b32_f16 v17, v69, v72
	v_add_f16_e32 v14, v14, v39
	ds_write2_b32 v58, v16, v17 offset1:17
	v_pack_b32_f16 v16, v70, v73
	v_pack_b32_f16 v17, v74, v77
	v_add_f16_e32 v25, v23, v19
	v_sub_f16_e32 v27, v13, v14
	v_sub_f16_e32 v28, v23, v19
	v_sub_f16_e32 v61, v12, v15
	ds_write2_b32 v58, v16, v17 offset0:34 offset1:51
	v_pack_b32_f16 v16, v75, v30
	v_pack_b32_f16 v17, v76, v21
	ds_write2_b32 v58, v16, v17 offset0:68 offset1:85
	s_and_saveexec_b64 s[14:15], s[2:3]
	s_cbranch_execz .LBB0_11
; %bb.10:
	v_add_f16_e32 v12, v12, v15
	v_add_f16_e32 v13, v13, v14
	v_add_lshl_u32 v14, v31, v237, 2
	s_mov_b32 s16, 0x5040100
	v_pack_b32_f16 v12, v13, v12
	v_perm_b32 v13, v59, v25, s16
	v_add_u32_e32 v15, 0x1000, v14
	ds_write2_b32 v15, v12, v13 offset0:200 offset1:217
	v_perm_b32 v12, v60, v26, s16
	v_perm_b32 v13, v61, v27, s16
	ds_write2_b32 v15, v12, v13 offset0:234 offset1:251
	v_perm_b32 v12, v62, v28, s16
	v_perm_b32 v13, v55, v228, s16
	v_add_u32_e32 v14, 0x1400, v14
	ds_write2_b32 v14, v12, v13 offset0:12 offset1:29
.LBB0_11:
	s_or_b64 exec, exec, s[14:15]
	v_mad_u64_u32 v[29:30], s[4:5], v46, 48, s[4:5]
	s_waitcnt lgkmcnt(0)
	s_barrier
	global_load_dwordx4 v[12:15], v[29:30], off offset:340
	global_load_dwordx4 v[16:19], v[29:30], off offset:356
	;; [unrolled: 1-line block ×3, first 2 shown]
	ds_read2_b32 v[29:30], v50 offset1:102
	v_add_u32_e32 v31, 0x200, v50
	v_add_u32_e32 v33, 0x400, v50
	;; [unrolled: 1-line block ×5, first 2 shown]
	ds_read_b32 v41, v50 offset:4896
	ds_read2_b32 v[31:32], v31 offset0:76 offset1:178
	ds_read2_b32 v[33:34], v33 offset0:152 offset1:254
	;; [unrolled: 1-line block ×5, first 2 shown]
	s_waitcnt lgkmcnt(6)
	v_lshrrev_b32_e32 v42, 16, v30
	s_waitcnt lgkmcnt(4)
	v_lshrrev_b32_e32 v44, 16, v31
	v_lshrrev_b32_e32 v47, 16, v32
	s_waitcnt lgkmcnt(3)
	v_lshrrev_b32_e32 v63, 16, v33
	;; [unrolled: 3-line block ×5, first 2 shown]
	v_lshrrev_b32_e32 v70, 16, v40
	v_lshrrev_b32_e32 v43, 16, v41
	s_movk_i32 s14, 0x3b15
	s_movk_i32 s5, 0x388b
	;; [unrolled: 1-line block ×3, first 2 shown]
	s_mov_b32 s15, 0xb5ac
	s_mov_b32 s16, 0xb9fd
	;; [unrolled: 1-line block ×3, first 2 shown]
	s_waitcnt vmcnt(2)
	v_mul_f16_sdwa v71, v42, v12 dst_sel:DWORD dst_unused:UNUSED_PAD src0_sel:DWORD src1_sel:WORD_1
	v_mul_f16_sdwa v72, v30, v12 dst_sel:DWORD dst_unused:UNUSED_PAD src0_sel:DWORD src1_sel:WORD_1
	;; [unrolled: 1-line block ×4, first 2 shown]
	v_fma_f16 v30, v30, v12, -v71
	v_mul_f16_sdwa v74, v31, v13 dst_sel:DWORD dst_unused:UNUSED_PAD src0_sel:DWORD src1_sel:WORD_1
	v_mul_f16_sdwa v75, v47, v14 dst_sel:DWORD dst_unused:UNUSED_PAD src0_sel:DWORD src1_sel:WORD_1
	;; [unrolled: 1-line block ×3, first 2 shown]
	v_fma_f16 v31, v31, v13, -v73
	v_fma_f16 v71, v63, v15, v78
	v_add_f16_e32 v63, v29, v30
	v_mul_f16_sdwa v76, v32, v14 dst_sel:DWORD dst_unused:UNUSED_PAD src0_sel:DWORD src1_sel:WORD_1
	s_waitcnt vmcnt(1)
	v_mul_f16_sdwa v80, v34, v16 dst_sel:DWORD dst_unused:UNUSED_PAD src0_sel:DWORD src1_sel:WORD_1
	v_fma_f16 v42, v42, v12, v72
	v_fma_f16 v32, v32, v14, -v75
	v_add_f16_e32 v63, v63, v31
	v_mul_f16_sdwa v79, v64, v16 dst_sel:DWORD dst_unused:UNUSED_PAD src0_sel:DWORD src1_sel:WORD_1
	v_fma_f16 v44, v44, v13, v74
	v_fma_f16 v33, v33, v15, -v77
	v_fma_f16 v72, v64, v16, v80
	v_add_f16_sdwa v64, v29, v42 dst_sel:DWORD dst_unused:UNUSED_PAD src0_sel:WORD_1 src1_sel:DWORD
	v_add_f16_e32 v63, v63, v32
	v_mul_f16_sdwa v81, v65, v17 dst_sel:DWORD dst_unused:UNUSED_PAD src0_sel:DWORD src1_sel:WORD_1
	v_fma_f16 v47, v47, v14, v76
	v_fma_f16 v34, v34, v16, -v79
	v_add_f16_e32 v64, v64, v44
	v_add_f16_e32 v63, v63, v33
	v_mul_f16_sdwa v82, v35, v17 dst_sel:DWORD dst_unused:UNUSED_PAD src0_sel:DWORD src1_sel:WORD_1
	v_mul_f16_sdwa v83, v66, v18 dst_sel:DWORD dst_unused:UNUSED_PAD src0_sel:DWORD src1_sel:WORD_1
	v_fma_f16 v35, v35, v17, -v81
	v_add_f16_e32 v64, v64, v47
	v_add_f16_e32 v63, v63, v34
	v_mul_f16_sdwa v84, v36, v18 dst_sel:DWORD dst_unused:UNUSED_PAD src0_sel:DWORD src1_sel:WORD_1
	v_mul_f16_sdwa v85, v67, v19 dst_sel:DWORD dst_unused:UNUSED_PAD src0_sel:DWORD src1_sel:WORD_1
	v_fma_f16 v36, v36, v18, -v83
	v_add_f16_e32 v64, v64, v71
	v_add_f16_e32 v63, v63, v35
	v_mul_f16_sdwa v86, v37, v19 dst_sel:DWORD dst_unused:UNUSED_PAD src0_sel:DWORD src1_sel:WORD_1
	s_waitcnt vmcnt(0)
	v_mul_f16_sdwa v87, v68, v20 dst_sel:DWORD dst_unused:UNUSED_PAD src0_sel:DWORD src1_sel:WORD_1
	v_fma_f16 v65, v65, v17, v82
	v_fma_f16 v37, v37, v19, -v85
	v_add_f16_e32 v64, v64, v72
	v_add_f16_e32 v63, v63, v36
	v_mul_f16_sdwa v88, v38, v20 dst_sel:DWORD dst_unused:UNUSED_PAD src0_sel:DWORD src1_sel:WORD_1
	v_mul_f16_sdwa v89, v69, v21 dst_sel:DWORD dst_unused:UNUSED_PAD src0_sel:DWORD src1_sel:WORD_1
	v_fma_f16 v66, v66, v18, v84
	v_fma_f16 v38, v38, v20, -v87
	v_add_f16_e32 v64, v64, v65
	v_add_f16_e32 v63, v63, v37
	v_mul_f16_sdwa v90, v39, v21 dst_sel:DWORD dst_unused:UNUSED_PAD src0_sel:DWORD src1_sel:WORD_1
	;; [unrolled: 6-line block ×3, first 2 shown]
	v_mul_f16_sdwa v93, v43, v23 dst_sel:DWORD dst_unused:UNUSED_PAD src0_sel:DWORD src1_sel:WORD_1
	v_mul_f16_sdwa v94, v41, v23 dst_sel:DWORD dst_unused:UNUSED_PAD src0_sel:DWORD src1_sel:WORD_1
	v_fma_f16 v68, v68, v20, v88
	v_fma_f16 v40, v40, v22, -v91
	v_add_f16_e32 v64, v64, v67
	v_add_f16_e32 v63, v63, v39
	v_fma_f16 v69, v69, v21, v90
	v_fma_f16 v41, v41, v23, -v93
	v_fma_f16 v43, v43, v23, v94
	v_add_f16_e32 v64, v64, v68
	v_add_f16_e32 v63, v63, v40
	v_fma_f16 v70, v70, v22, v92
	v_add_f16_e32 v64, v64, v69
	v_add_f16_e32 v63, v63, v41
	;; [unrolled: 1-line block ×3, first 2 shown]
	v_sub_f16_e32 v30, v30, v41
	v_sub_f16_e32 v41, v42, v43
	v_add_f16_e32 v64, v64, v70
	v_add_f16_e32 v74, v42, v43
	v_mul_f16_e32 v42, 0xb770, v41
	v_mul_f16_e32 v75, 0xb770, v30
	v_mul_f16_e32 v77, 0xba95, v41
	v_mul_f16_e32 v79, 0xba95, v30
	v_mul_f16_e32 v81, 0xbbf1, v41
	v_mul_f16_e32 v83, 0xbbf1, v30
	v_mul_f16_e32 v85, 0xbb7b, v41
	v_mul_f16_e32 v87, 0xbb7b, v30
	v_mul_f16_e32 v89, 0xb94e, v41
	v_mul_f16_e32 v91, 0xb94e, v30
	v_mul_f16_e32 v41, 0xb3a8, v41
	v_mul_f16_e32 v30, 0xb3a8, v30
	v_add_f16_e32 v64, v64, v43
	v_fma_f16 v43, v73, s14, -v42
	v_fma_f16 v76, v74, s14, v75
	v_fma_f16 v42, v73, s14, v42
	v_fma_f16 v75, v74, s14, -v75
	v_fma_f16 v78, v73, s5, -v77
	v_fma_f16 v80, v74, s5, v79
	v_fma_f16 v77, v73, s5, v77
	v_fma_f16 v79, v74, s5, -v79
	;; [unrolled: 4-line block ×6, first 2 shown]
	v_add_f16_e32 v43, v29, v43
	v_add_f16_sdwa v76, v29, v76 dst_sel:DWORD dst_unused:UNUSED_PAD src0_sel:WORD_1 src1_sel:DWORD
	v_add_f16_e32 v42, v29, v42
	v_add_f16_sdwa v75, v29, v75 dst_sel:DWORD dst_unused:UNUSED_PAD src0_sel:WORD_1 src1_sel:DWORD
	;; [unrolled: 2-line block ×12, first 2 shown]
	v_add_f16_e32 v30, v31, v40
	v_sub_f16_e32 v31, v31, v40
	v_sub_f16_e32 v40, v44, v70
	v_add_f16_e32 v73, v44, v70
	v_mul_f16_e32 v44, 0xba95, v40
	v_fma_f16 v70, v30, s5, -v44
	v_add_f16_e32 v43, v70, v43
	v_mul_f16_e32 v70, 0xba95, v31
	v_fma_f16 v44, v30, s5, v44
	v_fma_f16 v74, v73, s5, v70
	v_add_f16_e32 v42, v44, v42
	v_fma_f16 v44, v73, s5, -v70
	v_mul_f16_e32 v70, 0xbb7b, v40
	v_add_f16_e32 v74, v74, v76
	v_add_f16_e32 v44, v44, v75
	v_fma_f16 v75, v30, s15, -v70
	v_mul_f16_e32 v76, 0xbb7b, v31
	v_fma_f16 v70, v30, s15, v70
	v_add_f16_e32 v75, v75, v78
	v_fma_f16 v78, v73, s15, v76
	v_add_f16_e32 v70, v70, v77
	v_fma_f16 v76, v73, s15, -v76
	v_mul_f16_e32 v77, 0xb3a8, v40
	v_add_f16_e32 v78, v78, v80
	v_add_f16_e32 v76, v76, v79
	v_fma_f16 v79, v30, s17, -v77
	v_mul_f16_e32 v80, 0xb3a8, v31
	v_fma_f16 v77, v30, s17, v77
	v_add_f16_e32 v79, v79, v82
	;; [unrolled: 10-line block ×3, first 2 shown]
	v_fma_f16 v86, v73, s16, v84
	v_add_f16_e32 v81, v81, v85
	v_fma_f16 v84, v73, s16, -v84
	v_mul_f16_e32 v85, 0x3bf1, v40
	v_add_f16_e32 v86, v86, v88
	v_add_f16_e32 v84, v84, v87
	v_fma_f16 v87, v30, s4, -v85
	v_mul_f16_e32 v88, 0x3bf1, v31
	v_add_f16_e32 v87, v87, v90
	v_fma_f16 v90, v73, s4, v88
	v_fma_f16 v88, v73, s4, -v88
	v_mul_f16_e32 v31, 0x3770, v31
	v_fma_f16 v85, v30, s4, v85
	v_add_f16_e32 v88, v88, v91
	v_mul_f16_e32 v40, 0x3770, v40
	v_fma_f16 v91, v73, s14, v31
	v_fma_f16 v31, v73, s14, -v31
	v_add_f16_e32 v85, v85, v89
	v_fma_f16 v89, v30, s14, -v40
	v_fma_f16 v30, v30, s14, v40
	v_add_f16_e32 v29, v31, v29
	v_add_f16_e32 v31, v32, v39
	v_sub_f16_e32 v32, v32, v39
	v_sub_f16_e32 v39, v47, v69
	v_add_f16_e32 v30, v30, v41
	v_mul_f16_e32 v41, 0xbbf1, v39
	v_add_f16_e32 v40, v47, v69
	v_fma_f16 v47, v31, s4, -v41
	v_add_f16_e32 v43, v47, v43
	v_mul_f16_e32 v47, 0xbbf1, v32
	v_fma_f16 v41, v31, s4, v41
	v_add_f16_e32 v41, v41, v42
	v_fma_f16 v42, v40, s4, -v47
	v_add_f16_e32 v42, v42, v44
	v_mul_f16_e32 v44, 0xb3a8, v39
	v_fma_f16 v69, v40, s4, v47
	v_fma_f16 v47, v31, s17, -v44
	v_mul_f16_e32 v73, 0xb3a8, v32
	v_fma_f16 v44, v31, s17, v44
	v_add_f16_e32 v69, v69, v74
	v_fma_f16 v74, v40, s17, v73
	v_add_f16_e32 v44, v44, v70
	v_fma_f16 v70, v40, s17, -v73
	v_mul_f16_e32 v73, 0x3b7b, v39
	v_add_f16_e32 v47, v47, v75
	v_fma_f16 v75, v31, s15, -v73
	v_fma_f16 v73, v31, s15, v73
	v_add_f16_e32 v70, v70, v76
	v_mul_f16_e32 v76, 0x3b7b, v32
	v_add_f16_e32 v73, v73, v77
	v_mul_f16_e32 v77, 0x3770, v39
	v_add_f16_e32 v74, v74, v78
	v_add_f16_e32 v75, v75, v79
	v_fma_f16 v78, v40, s15, v76
	v_fma_f16 v76, v40, s15, -v76
	v_fma_f16 v79, v31, s14, -v77
	v_fma_f16 v77, v31, s14, v77
	v_add_f16_e32 v76, v76, v80
	v_mul_f16_e32 v80, 0x3770, v32
	v_add_f16_e32 v77, v77, v81
	v_mul_f16_e32 v81, 0xba95, v39
	v_add_f16_e32 v78, v78, v82
	v_add_f16_e32 v79, v79, v83
	v_fma_f16 v82, v40, s14, v80
	v_fma_f16 v80, v40, s14, -v80
	v_fma_f16 v83, v31, s5, -v81
	v_fma_f16 v81, v31, s5, v81
	v_mul_f16_e32 v39, 0xb94e, v39
	v_add_f16_e32 v80, v80, v84
	v_mul_f16_e32 v84, 0xba95, v32
	v_add_f16_e32 v81, v81, v85
	v_fma_f16 v85, v31, s16, -v39
	v_mul_f16_e32 v32, 0xb94e, v32
	v_fma_f16 v31, v31, s16, v39
	v_add_f16_e32 v30, v31, v30
	v_fma_f16 v31, v40, s16, -v32
	v_add_f16_e32 v29, v31, v29
	v_add_f16_e32 v31, v33, v38
	v_sub_f16_e32 v33, v33, v38
	v_sub_f16_e32 v38, v71, v68
	v_mul_f16_e32 v39, 0xbb7b, v38
	v_add_f16_e32 v82, v82, v86
	v_add_f16_e32 v83, v83, v87
	v_fma_f16 v86, v40, s5, v84
	v_fma_f16 v84, v40, s5, -v84
	v_fma_f16 v87, v40, s16, v32
	v_fma_f16 v40, v31, s15, -v39
	v_add_f16_e32 v32, v71, v68
	v_add_f16_e32 v40, v40, v43
	v_mul_f16_e32 v43, 0xbb7b, v33
	v_fma_f16 v39, v31, s15, v39
	v_add_f16_e32 v39, v39, v41
	v_fma_f16 v41, v32, s15, -v43
	v_add_f16_e32 v41, v41, v42
	v_mul_f16_e32 v42, 0x394e, v38
	v_fma_f16 v68, v32, s15, v43
	v_fma_f16 v43, v31, s16, -v42
	v_add_f16_e32 v43, v43, v47
	v_mul_f16_e32 v47, 0x394e, v33
	v_fma_f16 v42, v31, s16, v42
	v_add_f16_e32 v68, v68, v69
	v_fma_f16 v69, v32, s16, v47
	v_add_f16_e32 v42, v42, v44
	v_fma_f16 v44, v32, s16, -v47
	v_mul_f16_e32 v47, 0x3770, v38
	v_add_f16_e32 v44, v44, v70
	v_fma_f16 v70, v31, s14, -v47
	v_fma_f16 v47, v31, s14, v47
	v_mul_f16_e32 v71, 0x3770, v33
	v_add_f16_e32 v47, v47, v73
	v_mul_f16_e32 v73, 0xbbf1, v38
	v_add_f16_e32 v69, v69, v74
	v_add_f16_e32 v70, v70, v75
	v_fma_f16 v74, v32, s14, v71
	v_fma_f16 v71, v32, s14, -v71
	v_fma_f16 v75, v31, s4, -v73
	v_fma_f16 v73, v31, s4, v73
	v_add_f16_e32 v71, v71, v76
	v_mul_f16_e32 v76, 0xbbf1, v33
	v_add_f16_e32 v73, v73, v77
	v_mul_f16_e32 v77, 0x33a8, v38
	v_add_f16_e32 v74, v74, v78
	v_add_f16_e32 v75, v75, v79
	v_fma_f16 v78, v32, s4, v76
	v_fma_f16 v76, v32, s4, -v76
	v_fma_f16 v79, v31, s17, -v77
	v_fma_f16 v77, v31, s17, v77
	v_mul_f16_e32 v38, 0x3a95, v38
	v_add_f16_e32 v76, v76, v80
	v_mul_f16_e32 v80, 0x33a8, v33
	v_add_f16_e32 v77, v77, v81
	v_fma_f16 v81, v31, s5, -v38
	v_mul_f16_e32 v33, 0x3a95, v33
	v_fma_f16 v31, v31, s5, v38
	v_add_f16_e32 v30, v31, v30
	v_fma_f16 v31, v32, s5, -v33
	v_add_f16_e32 v79, v79, v83
	v_fma_f16 v83, v32, s5, v33
	v_add_f16_e32 v29, v31, v29
	v_add_f16_e32 v31, v34, v37
	v_sub_f16_e32 v33, v34, v37
	v_sub_f16_e32 v34, v72, v67
	v_mul_f16_e32 v37, 0xb94e, v34
	v_fma_f16 v38, v31, s16, -v37
	v_add_f16_e32 v78, v78, v82
	v_fma_f16 v82, v32, s17, v80
	v_fma_f16 v80, v32, s17, -v80
	v_add_f16_e32 v32, v72, v67
	v_add_f16_e32 v38, v38, v40
	v_mul_f16_e32 v40, 0xb94e, v33
	v_fma_f16 v37, v31, s16, v37
	v_fma_f16 v67, v32, s16, v40
	v_add_f16_e32 v37, v37, v39
	v_fma_f16 v39, v32, s16, -v40
	v_mul_f16_e32 v40, 0x3bf1, v34
	v_add_f16_e32 v39, v39, v41
	v_fma_f16 v41, v31, s4, -v40
	v_add_f16_e32 v41, v41, v43
	v_mul_f16_e32 v43, 0x3bf1, v33
	v_fma_f16 v40, v31, s4, v40
	v_add_f16_e32 v67, v67, v68
	v_fma_f16 v68, v32, s4, v43
	v_add_f16_e32 v40, v40, v42
	v_fma_f16 v42, v32, s4, -v43
	v_mul_f16_e32 v43, 0xba95, v34
	v_add_f16_e32 v68, v68, v69
	v_add_f16_e32 v42, v42, v44
	v_fma_f16 v44, v31, s5, -v43
	v_mul_f16_e32 v69, 0xba95, v33
	v_fma_f16 v43, v31, s5, v43
	v_add_f16_e32 v44, v44, v70
	v_fma_f16 v70, v32, s5, v69
	v_add_f16_e32 v43, v43, v47
	v_fma_f16 v47, v32, s5, -v69
	v_mul_f16_e32 v69, 0x33a8, v34
	v_add_f16_e32 v47, v47, v71
	v_fma_f16 v71, v31, s17, -v69
	v_mul_f16_e32 v72, 0x33a8, v33
	v_fma_f16 v69, v31, s17, v69
	v_add_f16_e32 v73, v69, v73
	v_fma_f16 v69, v32, s17, -v72
	v_add_f16_e32 v71, v71, v75
	v_add_f16_e32 v75, v69, v76
	v_mul_f16_e32 v69, 0x3770, v34
	v_add_f16_e32 v70, v70, v74
	v_fma_f16 v74, v32, s17, v72
	v_fma_f16 v72, v31, s14, -v69
	v_add_f16_e32 v90, v90, v92
	v_add_f16_e32 v89, v89, v93
	;; [unrolled: 1-line block ×4, first 2 shown]
	v_mul_f16_e32 v72, 0x3770, v33
	v_fma_f16 v69, v31, s14, v69
	v_add_f16_e32 v91, v91, v94
	v_add_f16_e32 v86, v86, v90
	;; [unrolled: 1-line block ×5, first 2 shown]
	v_fma_f16 v69, v32, s14, -v72
	v_mul_f16_e32 v34, 0xbb7b, v34
	v_add_f16_e32 v87, v87, v91
	v_add_f16_e32 v82, v82, v86
	v_add_f16_e32 v81, v81, v85
	v_add_f16_e32 v74, v74, v78
	v_fma_f16 v78, v32, s14, v72
	v_add_f16_e32 v79, v69, v80
	v_fma_f16 v69, v31, s15, -v34
	v_mul_f16_e32 v33, 0xbb7b, v33
	v_fma_f16 v31, v31, s15, v34
	v_add_f16_e32 v83, v83, v87
	v_add_f16_e32 v78, v78, v82
	;; [unrolled: 1-line block ×3, first 2 shown]
	v_fma_f16 v69, v32, s15, v33
	v_add_f16_e32 v82, v31, v30
	v_fma_f16 v30, v32, s15, -v33
	v_sub_f16_e32 v86, v35, v36
	v_sub_f16_e32 v87, v65, v66
	v_add_f16_e32 v81, v69, v83
	v_add_f16_e32 v83, v30, v29
	;; [unrolled: 1-line block ×4, first 2 shown]
	v_mul_f16_e32 v30, 0xb3a8, v87
	v_mul_f16_e32 v31, 0xb3a8, v86
	v_fma_f16 v29, v84, s17, -v30
	v_fma_f16 v32, v85, s17, v31
	v_fma_f16 v30, v84, s17, v30
	v_add_f16_e32 v65, v32, v67
	v_add_f16_e32 v34, v30, v37
	v_fma_f16 v30, v85, s17, -v31
	v_mul_f16_e32 v31, 0x3770, v87
	v_mul_f16_e32 v32, 0x3770, v86
	v_add_f16_e32 v69, v30, v39
	v_fma_f16 v30, v84, s14, -v31
	v_fma_f16 v33, v85, s14, v32
	v_fma_f16 v31, v84, s14, v31
	v_add_f16_e32 v66, v33, v68
	v_add_f16_e32 v33, v31, v40
	v_fma_f16 v31, v85, s14, -v32
	v_mul_f16_e32 v32, 0xb94e, v87
	v_mul_f16_e32 v35, 0xb94e, v86
	v_add_f16_e32 v72, v31, v42
	v_fma_f16 v31, v84, s16, -v32
	v_fma_f16 v36, v85, s16, v35
	v_fma_f16 v32, v84, s16, v32
	v_mul_f16_e32 v37, 0x3a95, v86
	v_add_f16_e32 v29, v29, v38
	v_add_f16_e32 v67, v36, v70
	;; [unrolled: 1-line block ×3, first 2 shown]
	v_fma_f16 v32, v85, s16, -v35
	v_mul_f16_e32 v35, 0x3a95, v87
	v_fma_f16 v38, v85, s5, v37
	v_add_f16_e32 v30, v30, v41
	v_add_f16_e32 v70, v32, v47
	v_fma_f16 v32, v84, s5, -v35
	v_add_f16_e32 v68, v38, v74
	v_fma_f16 v37, v85, s5, -v37
	v_mul_f16_e32 v38, 0xbb7b, v87
	v_mul_f16_e32 v39, 0xbb7b, v86
	;; [unrolled: 1-line block ×3, first 2 shown]
	v_add_f16_e32 v32, v32, v71
	v_fma_f16 v35, v84, s5, v35
	v_add_f16_e32 v71, v37, v75
	v_fma_f16 v37, v84, s15, -v38
	v_fma_f16 v40, v85, s15, v39
	v_fma_f16 v38, v84, s15, v38
	;; [unrolled: 1-line block ×3, first 2 shown]
	v_fma_f16 v41, v85, s4, -v41
	v_add_f16_e32 v35, v35, v73
	v_add_f16_e32 v37, v37, v76
	;; [unrolled: 1-line block ×4, first 2 shown]
	v_fma_f16 v38, v85, s15, -v39
	v_mul_f16_e32 v39, 0x3bf1, v87
	v_add_f16_e32 v76, v41, v83
	v_lshl_add_u32 v47, v46, 2, v241
	v_pack_b32_f16 v41, v63, v64
	v_add_f16_e32 v31, v31, v44
	v_add_f16_e32 v74, v38, v79
	v_fma_f16 v38, v84, s4, -v39
	v_add_f16_e32 v75, v42, v81
	ds_write_b32 v47, v41
	v_pack_b32_f16 v41, v29, v65
	v_pack_b32_f16 v42, v30, v66
	v_add_f16_e32 v38, v38, v80
	v_fma_f16 v39, v84, s4, v39
	ds_write2_b32 v47, v41, v42 offset0:102 offset1:204
	v_pack_b32_f16 v41, v31, v67
	v_pack_b32_f16 v42, v32, v68
	v_add_u32_e32 v44, 0x400, v47
	v_add_f16_e32 v39, v39, v82
	ds_write2_b32 v44, v41, v42 offset0:50 offset1:152
	v_pack_b32_f16 v41, v37, v73
	v_pack_b32_f16 v42, v38, v75
	v_add_u32_e32 v43, 0x600, v47
	ds_write2_b32 v43, v41, v42 offset0:126 offset1:228
	v_pack_b32_f16 v41, v39, v76
	v_pack_b32_f16 v42, v40, v74
	v_add_u32_e32 v43, 0xa00, v47
	;; [unrolled: 4-line block ×4, first 2 shown]
	ds_write2_b32 v41, v77, v78 offset0:98 offset1:200
	s_waitcnt lgkmcnt(0)
	s_barrier
	s_and_saveexec_b64 s[4:5], s[0:1]
	s_cbranch_execz .LBB0_13
; %bb.12:
	v_mov_b32_e32 v77, s7
	v_add_co_u32_e32 v81, vcc, s6, v239
	v_addc_co_u32_e32 v82, vcc, 0, v77, vcc
	v_add_co_u32_e32 v77, vcc, 0x14b8, v81
	v_addc_co_u32_e32 v78, vcc, 0, v82, vcc
	;; [unrolled: 2-line block ×3, first 2 shown]
	global_load_dword v83, v[79:80], off offset:1208
	global_load_dword v85, v[77:78], off offset:312
	global_load_dword v86, v[77:78], off offset:624
	global_load_dword v87, v[77:78], off offset:936
	global_load_dword v88, v[77:78], off offset:1248
	global_load_dword v89, v[77:78], off offset:1560
	global_load_dword v90, v[77:78], off offset:1872
	global_load_dword v91, v[77:78], off offset:2184
	global_load_dword v92, v[77:78], off offset:2496
	global_load_dword v93, v[77:78], off offset:2808
	global_load_dword v96, v[77:78], off offset:3120
	s_movk_i32 s14, 0x2000
	v_add_co_u32_e32 v79, vcc, s14, v81
	ds_read_b32 v84, v47
	v_addc_co_u32_e32 v80, vcc, 0, v82, vcc
	global_load_dword v97, v[77:78], off offset:3432
	global_load_dword v98, v[77:78], off offset:3744
	;; [unrolled: 1-line block ×6, first 2 shown]
	s_waitcnt lgkmcnt(0)
	v_lshrrev_b32_e32 v77, 16, v84
	v_add_u32_e32 v94, 0x200, v47
	v_add_u32_e32 v95, 0x800, v47
	s_waitcnt vmcnt(16)
	v_mul_f16_sdwa v78, v77, v83 dst_sel:DWORD dst_unused:UNUSED_PAD src0_sel:DWORD src1_sel:WORD_1
	v_mul_f16_sdwa v81, v84, v83 dst_sel:DWORD dst_unused:UNUSED_PAD src0_sel:DWORD src1_sel:WORD_1
	v_fma_f16 v78, v84, v83, -v78
	v_fma_f16 v77, v77, v83, v81
	v_pack_b32_f16 v77, v78, v77
	ds_write_b32 v47, v77
	ds_read2_b32 v[77:78], v47 offset0:78 offset1:156
	ds_read2_b32 v[79:80], v94 offset0:106 offset1:184
	;; [unrolled: 1-line block ×4, first 2 shown]
	s_waitcnt lgkmcnt(2)
	v_lshrrev_b32_e32 v107, 16, v79
	v_lshrrev_b32_e32 v103, 16, v77
	s_waitcnt vmcnt(15)
	v_mul_f16_sdwa v104, v77, v85 dst_sel:DWORD dst_unused:UNUSED_PAD src0_sel:DWORD src1_sel:WORD_1
	v_lshrrev_b32_e32 v105, 16, v78
	s_waitcnt vmcnt(14)
	v_mul_f16_sdwa v106, v78, v86 dst_sel:DWORD dst_unused:UNUSED_PAD src0_sel:DWORD src1_sel:WORD_1
	s_waitcnt vmcnt(13)
	v_mul_f16_sdwa v108, v79, v87 dst_sel:DWORD dst_unused:UNUSED_PAD src0_sel:DWORD src1_sel:WORD_1
	v_lshrrev_b32_e32 v109, 16, v80
	s_waitcnt vmcnt(12)
	v_mul_f16_sdwa v110, v80, v88 dst_sel:DWORD dst_unused:UNUSED_PAD src0_sel:DWORD src1_sel:WORD_1
	s_waitcnt lgkmcnt(1)
	v_lshrrev_b32_e32 v111, 16, v81
	s_waitcnt vmcnt(11)
	v_mul_f16_sdwa v112, v81, v89 dst_sel:DWORD dst_unused:UNUSED_PAD src0_sel:DWORD src1_sel:WORD_1
	v_lshrrev_b32_e32 v113, 16, v82
	v_mul_f16_sdwa v118, v103, v85 dst_sel:DWORD dst_unused:UNUSED_PAD src0_sel:DWORD src1_sel:WORD_1
	v_fma_f16 v103, v103, v85, v104
	v_mul_f16_sdwa v104, v105, v86 dst_sel:DWORD dst_unused:UNUSED_PAD src0_sel:DWORD src1_sel:WORD_1
	s_waitcnt vmcnt(10)
	v_mul_f16_sdwa v114, v82, v90 dst_sel:DWORD dst_unused:UNUSED_PAD src0_sel:DWORD src1_sel:WORD_1
	v_fma_f16 v105, v105, v86, v106
	v_mul_f16_sdwa v106, v107, v87 dst_sel:DWORD dst_unused:UNUSED_PAD src0_sel:DWORD src1_sel:WORD_1
	v_fma_f16 v107, v107, v87, v108
	;; [unrolled: 2-line block ×4, first 2 shown]
	v_mul_f16_sdwa v112, v113, v90 dst_sel:DWORD dst_unused:UNUSED_PAD src0_sel:DWORD src1_sel:WORD_1
	v_fma_f16 v77, v77, v85, -v118
	v_fma_f16 v78, v78, v86, -v104
	v_fma_f16 v113, v113, v90, v114
	v_fma_f16 v79, v79, v87, -v106
	v_fma_f16 v80, v80, v88, -v108
	;; [unrolled: 1-line block ×4, first 2 shown]
	v_pack_b32_f16 v77, v77, v103
	v_pack_b32_f16 v78, v78, v105
	v_pack_b32_f16 v79, v79, v107
	v_pack_b32_f16 v80, v80, v109
	v_pack_b32_f16 v81, v81, v111
	v_pack_b32_f16 v82, v82, v113
	ds_write2_b32 v47, v77, v78 offset0:78 offset1:156
	ds_write2_b32 v94, v79, v80 offset0:106 offset1:184
	;; [unrolled: 1-line block ×3, first 2 shown]
	ds_read2_b32 v[77:78], v43 offset0:62 offset1:140
	s_waitcnt lgkmcnt(4)
	v_lshrrev_b32_e32 v115, 16, v83
	s_waitcnt vmcnt(9)
	v_mul_f16_sdwa v116, v83, v91 dst_sel:DWORD dst_unused:UNUSED_PAD src0_sel:DWORD src1_sel:WORD_1
	v_lshrrev_b32_e32 v117, 16, v84
	v_mul_f16_sdwa v114, v115, v91 dst_sel:DWORD dst_unused:UNUSED_PAD src0_sel:DWORD src1_sel:WORD_1
	v_fma_f16 v115, v115, v91, v116
	s_waitcnt vmcnt(8)
	v_mul_f16_sdwa v116, v117, v92 dst_sel:DWORD dst_unused:UNUSED_PAD src0_sel:DWORD src1_sel:WORD_1
	v_mul_f16_sdwa v79, v84, v92 dst_sel:DWORD dst_unused:UNUSED_PAD src0_sel:DWORD src1_sel:WORD_1
	v_fma_f16 v83, v83, v91, -v114
	v_fma_f16 v44, v84, v92, -v116
	v_fma_f16 v79, v117, v92, v79
	v_pack_b32_f16 v83, v83, v115
	v_pack_b32_f16 v44, v44, v79
	ds_write2_b32 v95, v83, v44 offset0:34 offset1:112
	s_waitcnt lgkmcnt(1)
	v_lshrrev_b32_e32 v44, 16, v77
	s_waitcnt vmcnt(7)
	v_mul_f16_sdwa v79, v44, v93 dst_sel:DWORD dst_unused:UNUSED_PAD src0_sel:DWORD src1_sel:WORD_1
	v_fma_f16 v79, v77, v93, -v79
	v_mul_f16_sdwa v77, v77, v93 dst_sel:DWORD dst_unused:UNUSED_PAD src0_sel:DWORD src1_sel:WORD_1
	v_fma_f16 v44, v44, v93, v77
	v_lshrrev_b32_e32 v77, 16, v78
	v_pack_b32_f16 v44, v79, v44
	s_waitcnt vmcnt(6)
	v_mul_f16_sdwa v79, v77, v96 dst_sel:DWORD dst_unused:UNUSED_PAD src0_sel:DWORD src1_sel:WORD_1
	v_fma_f16 v81, v78, v96, -v79
	ds_read2_b32 v[79:80], v42 offset0:90 offset1:168
	v_mul_f16_sdwa v78, v78, v96 dst_sel:DWORD dst_unused:UNUSED_PAD src0_sel:DWORD src1_sel:WORD_1
	v_fma_f16 v77, v77, v96, v78
	v_pack_b32_f16 v77, v81, v77
	ds_write2_b32 v43, v44, v77 offset0:62 offset1:140
	s_waitcnt lgkmcnt(1)
	v_lshrrev_b32_e32 v43, 16, v79
	s_waitcnt vmcnt(5)
	v_mul_f16_sdwa v44, v43, v97 dst_sel:DWORD dst_unused:UNUSED_PAD src0_sel:DWORD src1_sel:WORD_1
	v_mul_f16_sdwa v77, v79, v97 dst_sel:DWORD dst_unused:UNUSED_PAD src0_sel:DWORD src1_sel:WORD_1
	v_fma_f16 v44, v79, v97, -v44
	v_fma_f16 v43, v43, v97, v77
	v_lshrrev_b32_e32 v78, 16, v80
	v_pack_b32_f16 v77, v44, v43
	s_waitcnt vmcnt(4)
	v_mul_f16_sdwa v43, v78, v98 dst_sel:DWORD dst_unused:UNUSED_PAD src0_sel:DWORD src1_sel:WORD_1
	v_add_u32_e32 v81, 0xe00, v47
	v_fma_f16 v79, v80, v98, -v43
	ds_read2_b32 v[43:44], v81 offset0:118 offset1:196
	v_mul_f16_sdwa v80, v80, v98 dst_sel:DWORD dst_unused:UNUSED_PAD src0_sel:DWORD src1_sel:WORD_1
	v_fma_f16 v78, v78, v98, v80
	v_pack_b32_f16 v78, v79, v78
	ds_write2_b32 v42, v77, v78 offset0:90 offset1:168
	s_waitcnt lgkmcnt(1)
	v_lshrrev_b32_e32 v42, 16, v43
	s_waitcnt vmcnt(1)
	v_mul_f16_sdwa v77, v42, v101 dst_sel:DWORD dst_unused:UNUSED_PAD src0_sel:DWORD src1_sel:WORD_1
	v_fma_f16 v77, v43, v101, -v77
	v_mul_f16_sdwa v43, v43, v101 dst_sel:DWORD dst_unused:UNUSED_PAD src0_sel:DWORD src1_sel:WORD_1
	v_fma_f16 v42, v42, v101, v43
	v_lshrrev_b32_e32 v78, 16, v44
	v_pack_b32_f16 v77, v77, v42
	v_mul_f16_sdwa v42, v78, v99 dst_sel:DWORD dst_unused:UNUSED_PAD src0_sel:DWORD src1_sel:WORD_1
	v_fma_f16 v79, v44, v99, -v42
	ds_read2_b32 v[42:43], v41 offset0:146 offset1:224
	v_mul_f16_sdwa v44, v44, v99 dst_sel:DWORD dst_unused:UNUSED_PAD src0_sel:DWORD src1_sel:WORD_1
	v_fma_f16 v44, v78, v99, v44
	v_pack_b32_f16 v44, v79, v44
	ds_write2_b32 v81, v77, v44 offset0:118 offset1:196
	s_waitcnt lgkmcnt(1)
	v_lshrrev_b32_e32 v44, 16, v42
	v_mul_f16_sdwa v77, v44, v100 dst_sel:DWORD dst_unused:UNUSED_PAD src0_sel:DWORD src1_sel:WORD_1
	v_fma_f16 v77, v42, v100, -v77
	v_mul_f16_sdwa v42, v42, v100 dst_sel:DWORD dst_unused:UNUSED_PAD src0_sel:DWORD src1_sel:WORD_1
	v_fma_f16 v42, v44, v100, v42
	v_lshrrev_b32_e32 v44, 16, v43
	v_pack_b32_f16 v42, v77, v42
	s_waitcnt vmcnt(0)
	v_mul_f16_sdwa v77, v44, v102 dst_sel:DWORD dst_unused:UNUSED_PAD src0_sel:DWORD src1_sel:WORD_1
	v_fma_f16 v77, v43, v102, -v77
	v_mul_f16_sdwa v43, v43, v102 dst_sel:DWORD dst_unused:UNUSED_PAD src0_sel:DWORD src1_sel:WORD_1
	v_fma_f16 v43, v44, v102, v43
	v_pack_b32_f16 v43, v77, v43
	ds_write2_b32 v41, v42, v43 offset0:146 offset1:224
.LBB0_13:
	s_or_b64 exec, exec, s[4:5]
	s_waitcnt lgkmcnt(0)
	s_barrier
	s_and_saveexec_b64 s[4:5], s[0:1]
	s_cbranch_execz .LBB0_15
; %bb.14:
	v_add_u32_e32 v25, 0x200, v47
	ds_read_b32 v63, v47
	ds_read2_b32 v[29:30], v47 offset0:78 offset1:156
	ds_read2_b32 v[31:32], v25 offset0:106 offset1:184
	v_add_u32_e32 v25, 0x400, v47
	ds_read2_b32 v[37:38], v25 offset0:134 offset1:212
	v_add_u32_e32 v25, 0x800, v47
	;; [unrolled: 2-line block ×5, first 2 shown]
	v_add_u32_e32 v27, 0x1000, v47
	ds_read2_b32 v[25:26], v25 offset0:118 offset1:196
	ds_read2_b32 v[27:28], v27 offset0:146 offset1:224
	s_waitcnt lgkmcnt(8)
	v_lshrrev_b32_e32 v64, 16, v63
	s_waitcnt lgkmcnt(7)
	v_lshrrev_b32_e32 v65, 16, v29
	v_lshrrev_b32_e32 v66, 16, v30
	s_waitcnt lgkmcnt(6)
	v_lshrrev_b32_e32 v67, 16, v31
	;; [unrolled: 3-line block ×8, first 2 shown]
	v_lshrrev_b32_e32 v62, 16, v28
.LBB0_15:
	s_or_b64 exec, exec, s[4:5]
	v_sub_f16_e32 v138, v65, v62
	v_add_f16_e32 v83, v28, v29
	v_add_f16_e32 v146, v62, v65
	s_movk_i32 s14, 0x3b76
	v_mul_f16_e32 v91, 0xb5c8, v138
	v_sub_f16_e32 v153, v66, v61
	v_sub_f16_e32 v84, v29, v28
	s_mov_b32 s17, 0xb5c8
	v_mul_f16_e32 v93, 0x3b76, v146
	v_fma_f16 v41, v83, s14, -v91
	s_movk_i32 s15, 0x39e9
	v_add_f16_e32 v85, v27, v30
	v_add_f16_e32 v161, v61, v66
	v_mul_f16_e32 v96, 0xb964, v153
	v_add_f16_e32 v41, v63, v41
	v_fma_f16 v42, v84, s17, v93
	s_mov_b32 s18, 0xb964
	v_mul_f16_e32 v95, 0xb964, v138
	v_sub_f16_e32 v86, v30, v27
	v_mul_f16_e32 v99, 0x39e9, v161
	v_fma_f16 v87, v85, s15, -v96
	v_add_f16_e32 v42, v64, v42
	v_mul_f16_e32 v98, 0x39e9, v146
	v_fma_f16 v43, v83, s15, -v95
	s_movk_i32 s19, 0x2de8
	v_add_f16_e32 v41, v87, v41
	v_fma_f16 v87, v86, s18, v99
	v_mul_f16_e32 v101, 0xbbf7, v153
	v_add_f16_e32 v43, v63, v43
	v_fma_f16 v44, v84, s18, v98
	s_movk_i32 s16, 0x3722
	v_mul_f16_e32 v103, 0xbb29, v138
	s_mov_b32 s25, 0xbbf7
	v_add_f16_e32 v42, v87, v42
	v_mul_f16_e32 v105, 0x2de8, v161
	v_fma_f16 v87, v85, s19, -v101
	v_add_f16_e32 v44, v64, v44
	s_mov_b32 s36, 0xbb29
	v_mul_f16_e32 v107, 0x3722, v146
	v_fma_f16 v77, v83, s16, -v103
	v_add_f16_e32 v43, v87, v43
	v_fma_f16 v87, v86, s25, v105
	s_mov_b32 s22, 0xb8d2
	v_mul_f16_e32 v112, 0xba62, v153
	v_add_f16_e32 v77, v63, v77
	v_fma_f16 v78, v84, s36, v107
	v_mul_f16_e32 v113, 0xbbf7, v138
	v_add_f16_e32 v44, v87, v44
	s_mov_b32 s27, 0xba62
	v_mul_f16_e32 v117, 0xb8d2, v161
	v_fma_f16 v87, v85, s22, -v112
	v_add_f16_e32 v78, v64, v78
	v_mul_f16_e32 v118, 0x2de8, v146
	v_fma_f16 v79, v83, s19, -v113
	v_add_f16_e32 v77, v87, v77
	v_fma_f16 v87, v86, s27, v117
	s_mov_b32 s21, 0xbbdd
	v_mul_f16_e32 v122, 0xb1e1, v153
	v_add_f16_e32 v79, v63, v79
	v_fma_f16 v80, v84, s25, v118
	s_mov_b32 s20, 0xb461
	v_mul_f16_e32 v129, 0xbbb2, v138
	v_add_f16_e32 v78, v87, v78
	s_mov_b32 s26, 0xb1e1
	v_mul_f16_e32 v126, 0xbbdd, v161
	v_fma_f16 v87, v85, s21, -v122
	v_add_f16_e32 v80, v64, v80
	s_mov_b32 s24, 0xbbb2
	v_mul_f16_e32 v143, 0xb461, v146
	v_fma_f16 v81, v83, s20, -v129
	v_add_f16_e32 v79, v87, v79
	v_fma_f16 v87, v86, s26, v126
	s_mov_b32 s23, 0xbacd
	v_mul_f16_e32 v139, 0x3836, v153
	v_add_f16_e32 v81, v63, v81
	v_fma_f16 v82, v84, s24, v143
	v_add_f16_e32 v80, v87, v80
	s_movk_i32 s37, 0x3836
	v_mul_f16_e32 v155, 0xbacd, v161
	v_fma_f16 v87, v85, s23, -v139
	v_add_f16_e32 v82, v64, v82
	v_add_f16_e32 v81, v87, v81
	v_fma_f16 v87, v86, s37, v155
	v_sub_f16_e32 v165, v67, v60
	v_add_f16_e32 v82, v87, v82
	v_add_f16_e32 v87, v26, v31
	v_add_f16_e32 v170, v60, v67
	v_mul_f16_e32 v102, 0xbb29, v165
	v_sub_f16_e32 v88, v31, v26
	v_mul_f16_e32 v106, 0x3722, v170
	v_fma_f16 v89, v87, s16, -v102
	v_add_f16_e32 v41, v89, v41
	v_fma_f16 v89, v88, s36, v106
	v_mul_f16_e32 v111, 0xba62, v165
	v_add_f16_e32 v42, v89, v42
	v_mul_f16_e32 v116, 0xb8d2, v170
	v_fma_f16 v89, v87, s22, -v111
	v_add_f16_e32 v43, v89, v43
	v_fma_f16 v89, v88, s27, v116
	v_mul_f16_e32 v121, 0x31e1, v165
	v_add_f16_e32 v44, v89, v44
	s_movk_i32 s38, 0x31e1
	v_mul_f16_e32 v125, 0xbbdd, v170
	v_fma_f16 v89, v87, s21, -v121
	v_add_f16_e32 v77, v89, v77
	v_fma_f16 v89, v88, s38, v125
	v_mul_f16_e32 v131, 0x3bb2, v165
	v_add_f16_e32 v78, v89, v78
	v_mul_f16_e32 v135, 0xb461, v170
	v_fma_f16 v89, v87, s20, -v131
	v_add_f16_e32 v79, v89, v79
	v_fma_f16 v89, v88, s28, v135
	v_mul_f16_e32 v150, 0x3964, v165
	v_add_f16_e32 v80, v89, v80
	s_movk_i32 s29, 0x3964
	v_mul_f16_e32 v164, 0x39e9, v170
	v_fma_f16 v89, v87, s15, -v150
	v_add_f16_e32 v81, v89, v81
	v_fma_f16 v89, v88, s29, v164
	v_sub_f16_e32 v174, v68, v59
	v_add_f16_e32 v82, v89, v82
	v_add_f16_e32 v89, v25, v32
	;; [unrolled: 1-line block ×3, first 2 shown]
	v_mul_f16_e32 v109, 0xbbf7, v174
	v_sub_f16_e32 v90, v32, v25
	v_mul_f16_e32 v114, 0x2de8, v179
	v_fma_f16 v92, v89, s19, -v109
	v_add_f16_e32 v41, v92, v41
	v_fma_f16 v92, v90, s25, v114
	v_mul_f16_e32 v120, 0xb1e1, v174
	v_add_f16_e32 v42, v92, v42
	v_mul_f16_e32 v124, 0xbbdd, v179
	v_fma_f16 v92, v89, s21, -v120
	v_add_f16_e32 v43, v92, v43
	v_fma_f16 v92, v90, s26, v124
	v_mul_f16_e32 v130, 0x3bb2, v174
	v_add_f16_e32 v44, v92, v44
	;; [unrolled: 6-line block ×3, first 2 shown]
	s_movk_i32 s30, 0x35c8
	v_mul_f16_e32 v147, 0x3b76, v179
	v_fma_f16 v92, v89, s14, -v141
	v_add_f16_e32 v79, v92, v79
	v_fma_f16 v92, v90, s30, v147
	v_mul_f16_e32 v159, 0xbb29, v174
	v_add_f16_e32 v80, v92, v80
	v_mul_f16_e32 v172, 0x3722, v179
	v_fma_f16 v92, v89, s16, -v159
	v_add_f16_e32 v81, v92, v81
	v_fma_f16 v92, v90, s36, v172
	v_sub_f16_e32 v181, v73, v69
	v_add_f16_e32 v82, v92, v82
	v_add_f16_e32 v92, v34, v37
	;; [unrolled: 1-line block ×3, first 2 shown]
	v_mul_f16_e32 v119, 0xbbb2, v181
	v_sub_f16_e32 v94, v37, v34
	v_mul_f16_e32 v123, 0xb461, v185
	v_fma_f16 v97, v92, s20, -v119
	v_add_f16_e32 v41, v97, v41
	v_fma_f16 v97, v94, s24, v123
	v_mul_f16_e32 v128, 0x3836, v181
	v_add_f16_e32 v42, v97, v42
	v_mul_f16_e32 v133, 0xbacd, v185
	v_fma_f16 v97, v92, s23, -v128
	v_add_f16_e32 v43, v97, v43
	v_fma_f16 v97, v94, s37, v133
	v_mul_f16_e32 v140, 0x3964, v181
	v_add_f16_e32 v44, v97, v44
	;; [unrolled: 6-line block ×4, first 2 shown]
	v_mul_f16_e32 v178, 0xbbdd, v185
	v_fma_f16 v97, v92, s21, -v168
	v_add_f16_e32 v81, v97, v81
	v_fma_f16 v97, v94, s26, v178
	v_sub_f16_e32 v186, v75, v72
	v_add_f16_e32 v82, v97, v82
	v_add_f16_e32 v97, v33, v38
	;; [unrolled: 1-line block ×3, first 2 shown]
	v_mul_f16_e32 v127, 0xba62, v186
	v_sub_f16_e32 v100, v38, v33
	v_mul_f16_e32 v132, 0xb8d2, v189
	v_fma_f16 v104, v97, s22, -v127
	v_add_f16_e32 v41, v104, v41
	v_fma_f16 v104, v100, s27, v132
	v_mul_f16_e32 v137, 0x3bb2, v186
	v_add_f16_e32 v42, v104, v42
	v_mul_f16_e32 v144, 0xb461, v189
	v_fma_f16 v104, v97, s20, -v137
	v_add_f16_e32 v43, v104, v43
	v_fma_f16 v104, v100, s28, v144
	v_mul_f16_e32 v151, 0xb5c8, v186
	v_add_f16_e32 v44, v104, v44
	;; [unrolled: 6-line block ×3, first 2 shown]
	s_mov_b32 s31, 0xb836
	v_mul_f16_e32 v169, 0xbacd, v189
	v_fma_f16 v104, v97, s23, -v163
	v_add_f16_e32 v79, v104, v79
	v_fma_f16 v104, v100, s31, v169
	v_mul_f16_e32 v175, 0x3bf7, v186
	v_add_f16_e32 v80, v104, v80
	s_movk_i32 s33, 0x3bf7
	v_mul_f16_e32 v184, 0x2de8, v189
	v_fma_f16 v104, v97, s19, -v175
	v_add_f16_e32 v81, v104, v81
	v_fma_f16 v104, v100, s33, v184
	v_sub_f16_e32 v190, v76, v70
	v_add_f16_e32 v82, v104, v82
	v_add_f16_e32 v104, v36, v39
	;; [unrolled: 1-line block ×3, first 2 shown]
	v_mul_f16_e32 v136, 0xb836, v190
	v_sub_f16_e32 v108, v39, v36
	v_mul_f16_e32 v142, 0xbacd, v192
	v_fma_f16 v110, v104, s23, -v136
	v_add_f16_e32 v41, v110, v41
	v_fma_f16 v110, v108, s31, v142
	v_mul_f16_e32 v149, 0x3b29, v190
	v_add_f16_e32 v42, v110, v42
	s_movk_i32 s34, 0x3b29
	v_mul_f16_e32 v156, 0x3722, v192
	v_fma_f16 v110, v104, s16, -v149
	v_add_f16_e32 v43, v110, v43
	v_fma_f16 v110, v108, s34, v156
	v_mul_f16_e32 v162, 0xbbf7, v190
	v_add_f16_e32 v171, v110, v44
	v_mul_f16_e32 v167, 0x2de8, v192
	v_fma_f16 v44, v104, s19, -v162
	v_add_f16_e32 v77, v44, v77
	v_fma_f16 v44, v108, s25, v167
	v_mul_f16_e32 v173, 0x3a62, v190
	v_add_f16_e32 v78, v44, v78
	s_movk_i32 s35, 0x3a62
	v_mul_f16_e32 v177, 0xb8d2, v192
	v_fma_f16 v44, v104, s22, -v173
	v_add_f16_e32 v187, v44, v79
	v_fma_f16 v44, v108, s35, v177
	v_mul_f16_e32 v182, 0xb5c8, v190
	v_add_f16_e32 v80, v44, v80
	v_mul_f16_e32 v188, 0x3b76, v192
	v_fma_f16 v44, v104, s14, -v182
	v_sub_f16_e32 v193, v74, v71
	v_add_f16_e32 v195, v44, v81
	v_fma_f16 v44, v108, s17, v188
	v_add_f16_e32 v110, v35, v40
	v_add_f16_e32 v194, v71, v74
	v_mul_f16_e32 v148, 0xb1e1, v193
	v_add_f16_e32 v196, v44, v82
	v_sub_f16_e32 v115, v40, v35
	v_mul_f16_e32 v154, 0xbbdd, v194
	v_fma_f16 v44, v110, s21, -v148
	v_add_f16_e32 v44, v44, v41
	v_fma_f16 v41, v115, s26, v154
	v_mul_f16_e32 v160, 0x35c8, v193
	v_add_f16_e32 v81, v41, v42
	v_mul_f16_e32 v166, 0x3b76, v194
	v_fma_f16 v41, v110, s14, -v160
	v_add_f16_e32 v43, v41, v43
	v_fma_f16 v41, v115, s30, v166
	v_add_f16_e32 v79, v41, v171
	v_mul_f16_e32 v171, 0xb836, v193
	v_mul_f16_e32 v176, 0xbacd, v194
	v_fma_f16 v41, v110, s23, -v171
	v_add_f16_e32 v42, v41, v77
	v_fma_f16 v41, v115, s31, v176
	v_mul_f16_e32 v180, 0x3964, v193
	v_add_f16_e32 v82, v41, v78
	v_mul_f16_e32 v183, 0x39e9, v194
	v_fma_f16 v41, v110, s15, -v180
	v_add_f16_e32 v41, v41, v187
	v_fma_f16 v77, v115, s29, v183
	v_mul_f16_e32 v187, 0xba62, v193
	v_mul_f16_e32 v191, 0xb8d2, v194
	v_add_f16_e32 v80, v77, v80
	v_fma_f16 v77, v110, s22, -v187
	v_fma_f16 v78, v115, s27, v191
	v_add_f16_e32 v77, v77, v195
	v_add_f16_e32 v78, v78, v196
	s_barrier
	s_and_saveexec_b64 s[4:5], s[0:1]
	s_cbranch_execz .LBB0_17
; %bb.16:
	v_mul_f16_e32 v243, 0xbbdd, v146
	v_fma_f16 v244, v84, s38, v243
	v_mul_f16_e32 v245, 0x3b76, v161
	v_add_f16_e32 v244, v64, v244
	v_fma_f16 v246, v86, s17, v245
	v_add_f16_e32 v244, v246, v244
	v_mul_f16_e32 v246, 0xbacd, v170
	v_fma_f16 v247, v88, s37, v246
	v_add_f16_e32 v244, v247, v244
	v_mul_f16_e32 v247, 0x39e9, v179
	;; [unrolled: 3-line block ×6, first 2 shown]
	v_fma_f16 v252, v115, s25, v251
	v_add_f16_e32 v29, v29, v63
	v_add_f16_e32 v45, v252, v244
	v_mul_f16_e32 v252, 0xb1e1, v138
	v_add_f16_e32 v29, v30, v29
	v_fma_f16 v253, v83, s21, v252
	v_mul_f16_e32 v254, 0x35c8, v153
	v_add_f16_e32 v29, v31, v29
	v_add_f16_e32 v253, v63, v253
	v_fma_f16 v255, v85, s14, v254
	v_add_f16_e32 v29, v32, v29
	v_add_f16_e32 v253, v255, v253
	v_mul_f16_e32 v255, 0xb836, v165
	v_add_f16_e32 v29, v37, v29
	v_fma_f16 v49, v87, s23, v255
	v_add_f16_e32 v29, v38, v29
	v_add_f16_e32 v49, v49, v253
	v_mul_f16_e32 v253, 0x3964, v174
	;; [unrolled: 5-line block ×4, first 2 shown]
	v_add_f16_e32 v29, v33, v29
	buffer_store_dword v24, off, s[48:51], 0 offset:8 ; 4-byte Folded Spill
	v_fma_f16 v24, v97, s16, v51
	v_add_f16_e32 v29, v34, v29
	v_add_f16_e32 v24, v24, v48
	v_mul_f16_e32 v48, 0xbbb2, v190
	v_add_f16_e32 v25, v25, v29
	v_fma_f16 v244, v104, s20, v48
	v_add_f16_e32 v25, v26, v25
	v_add_f16_e32 v24, v244, v24
	v_mul_f16_e32 v244, 0x3bf7, v193
	v_add_f16_e32 v25, v27, v25
	v_fma_f16 v27, v84, s26, v243
	v_fma_f16 v195, v110, s19, v244
	v_add_f16_e32 v25, v28, v25
	v_add_f16_e32 v27, v64, v27
	v_fma_f16 v28, v86, s30, v245
	v_add_f16_e32 v24, v195, v24
	v_mul_f16_e32 v195, 0xbacd, v146
	v_add_f16_e32 v27, v28, v27
	v_fma_f16 v28, v88, s31, v246
	buffer_store_dword v45, off, s[48:51], 0 ; 4-byte Folded Spill
	buffer_store_dword v24, off, s[48:51], 0 offset:4 ; 4-byte Folded Spill
	v_fma_f16 v24, v84, s37, v195
	v_mul_f16_e32 v45, 0x3722, v161
	v_add_f16_e32 v27, v28, v27
	v_fma_f16 v28, v90, s29, v247
	v_add_f16_e32 v24, v64, v24
	v_fma_f16 v205, v86, s36, v45
	;; [unrolled: 2-line block ×3, first 2 shown]
	v_add_f16_e32 v24, v205, v24
	v_mul_f16_e32 v205, 0x2de8, v170
	v_add_f16_e32 v27, v28, v27
	v_fma_f16 v28, v100, s34, v249
	v_fma_f16 v215, v88, s33, v205
	v_add_f16_e32 v27, v28, v27
	v_fma_f16 v28, v108, s24, v250
	v_add_f16_e32 v24, v215, v24
	v_mul_f16_e32 v215, 0xb8d2, v179
	v_add_f16_e32 v27, v28, v27
	v_fma_f16 v28, v115, s33, v251
	v_fma_f16 v196, v90, s27, v215
	v_add_f16_e32 v27, v28, v27
	v_fma_f16 v28, v83, s21, -v252
	v_add_f16_e32 v24, v196, v24
	v_mul_f16_e32 v196, 0x3b76, v185
	v_add_f16_e32 v28, v63, v28
	v_fma_f16 v29, v85, s14, -v254
	v_fma_f16 v225, v94, s30, v196
	v_add_f16_e32 v28, v29, v28
	v_fma_f16 v29, v87, s23, -v255
	v_add_f16_e32 v24, v225, v24
	v_mul_f16_e32 v225, 0xbbdd, v189
	v_add_f16_e32 v28, v29, v28
	v_fma_f16 v29, v89, s15, -v253
	;; [unrolled: 7-line block ×4, first 2 shown]
	v_fma_f16 v216, v115, s28, v235
	v_add_f16_e32 v28, v29, v28
	v_fma_f16 v29, v84, s31, v195
	v_add_f16_e32 v24, v216, v24
	v_mul_f16_e32 v216, 0xb836, v138
	v_add_f16_e32 v29, v64, v29
	v_fma_f16 v30, v86, s34, v45
	buffer_store_dword v24, off, s[48:51], 0 offset:12 ; 4-byte Folded Spill
	v_fma_f16 v24, v83, s23, v216
	v_mul_f16_e32 v56, 0x3b29, v153
	v_add_f16_e32 v29, v30, v29
	v_fma_f16 v30, v88, s25, v205
	v_add_f16_e32 v24, v63, v24
	v_fma_f16 v226, v85, s16, v56
	;; [unrolled: 2-line block ×3, first 2 shown]
	v_add_f16_e32 v24, v226, v24
	v_mul_f16_e32 v226, 0xbbf7, v165
	v_add_f16_e32 v29, v30, v29
	v_fma_f16 v30, v94, s17, v196
	v_fma_f16 v207, v87, s19, v226
	v_add_f16_e32 v29, v30, v29
	v_fma_f16 v30, v100, s26, v225
	v_add_f16_e32 v24, v207, v24
	v_mul_f16_e32 v207, 0x3a62, v174
	v_add_f16_e32 v29, v30, v29
	v_fma_f16 v30, v108, s29, v206
	v_fma_f16 v236, v89, s22, v207
	v_add_f16_e32 v29, v30, v29
	v_fma_f16 v30, v115, s24, v235
	v_add_f16_e32 v24, v236, v24
	v_mul_f16_e32 v236, 0xb5c8, v181
	v_add_f16_e32 v29, v30, v29
	v_fma_f16 v30, v83, s23, -v216
	v_fma_f16 v217, v92, s14, v236
	v_add_f16_e32 v30, v63, v30
	v_fma_f16 v31, v85, s16, -v56
	v_add_f16_e32 v24, v217, v24
	v_mul_f16_e32 v217, 0xb1e1, v186
	v_add_f16_e32 v30, v31, v30
	v_fma_f16 v31, v87, s19, -v226
	v_fma_f16 v198, v97, s21, v217
	v_add_f16_e32 v30, v31, v30
	v_fma_f16 v31, v89, s22, -v207
	;; [unrolled: 7-line block ×3, first 2 shown]
	v_add_f16_e32 v24, v227, v24
	v_mul_f16_e32 v227, 0xbbb2, v193
	v_add_f16_e32 v30, v31, v30
	v_fma_f16 v31, v104, s15, -v198
	v_mul_f16_e32 v146, 0xb8d2, v146
	v_add_f16_e32 v30, v31, v30
	v_fma_f16 v31, v110, s20, -v227
	v_mul_f16_e32 v161, 0xb461, v161
	v_add_f16_e32 v30, v31, v30
	v_fma_f16 v31, v84, s27, v146
	v_mul_f16_e32 v170, 0x3b76, v170
	v_add_f16_e32 v31, v64, v31
	v_fma_f16 v32, v86, s28, v161
	;; [unrolled: 3-line block ×8, first 2 shown]
	v_mul_f16_e32 v153, 0x3bb2, v153
	v_add_f16_e32 v31, v32, v31
	v_fma_f16 v32, v83, s22, -v138
	v_mul_f16_e32 v165, 0xb5c8, v165
	v_add_f16_e32 v32, v63, v32
	v_fma_f16 v33, v85, s20, -v153
	;; [unrolled: 3-line block ×7, first 2 shown]
	v_fma_f16 v197, v110, s20, v227
	v_add_f16_e32 v32, v33, v32
	v_fma_f16 v33, v110, s16, -v193
	v_add_f16_e32 v24, v197, v24
	v_fma_f16 v197, v84, s35, v146
	v_add_f16_e32 v32, v33, v32
	buffer_load_dword v33, off, s[48:51], 0 offset:8 ; 4-byte Folded Reload
	v_add_f16_e32 v197, v64, v197
	buffer_store_dword v24, off, s[48:51], 0 offset:16 ; 4-byte Folded Spill
	v_fma_f16 v24, v86, s24, v161
	v_add_f16_e32 v24, v24, v197
	v_fma_f16 v197, v88, s30, v170
	v_add_f16_e32 v24, v197, v24
	;; [unrolled: 2-line block ×6, first 2 shown]
	v_fma_f16 v197, v115, s36, v194
	v_mul_f16_e32 v204, 0xbbb2, v84
	v_add_f16_e32 v24, v197, v24
	v_fma_f16 v197, v83, s22, v138
	v_mul_f16_e32 v214, 0x3836, v86
	buffer_store_dword v24, off, s[48:51], 0 offset:20 ; 4-byte Folded Spill
	v_add_f16_e32 v197, v63, v197
	v_fma_f16 v24, v85, s20, v153
	v_sub_f16_e32 v143, v143, v204
	v_mul_f16_e32 v224, 0x3964, v88
	v_add_f16_e32 v24, v24, v197
	v_fma_f16 v197, v87, s14, v165
	v_sub_f16_e32 v155, v155, v214
	v_add_f16_e32 v143, v64, v143
	v_mul_f16_e32 v234, 0xbb29, v90
	v_add_f16_e32 v24, v197, v24
	v_fma_f16 v197, v89, s23, v174
	v_add_f16_e32 v143, v155, v143
	v_sub_f16_e32 v164, v164, v224
	v_mul_f16_e32 v203, 0xb461, v83
	v_add_f16_e32 v24, v197, v24
	v_fma_f16 v197, v92, s19, v181
	v_mul_f16_e32 v204, 0xb1e1, v94
	v_add_f16_e32 v143, v164, v143
	v_sub_f16_e32 v172, v172, v234
	v_mul_f16_e32 v213, 0xbacd, v85
	v_add_f16_e32 v24, v197, v24
	v_fma_f16 v197, v97, s15, v186
	v_add_f16_e32 v143, v172, v143
	v_sub_f16_e32 v178, v178, v204
	v_add_f16_e32 v129, v203, v129
	v_mul_f16_e32 v208, 0xbb29, v84
	v_mul_f16_e32 v223, 0x39e9, v87
	v_add_f16_e32 v24, v197, v24
	v_fma_f16 v197, v104, s21, v190
	v_add_f16_e32 v143, v178, v143
	v_mul_f16_e32 v178, 0x3bf7, v100
	v_add_f16_e32 v139, v213, v139
	v_add_f16_e32 v129, v63, v129
	v_mul_f16_e32 v210, 0xba62, v86
	v_mul_f16_e32 v233, 0x3722, v89
	v_add_f16_e32 v24, v197, v24
	v_fma_f16 v197, v110, s16, v193
	v_sub_f16_e32 v178, v184, v178
	v_add_f16_e32 v129, v139, v129
	v_add_f16_e32 v150, v223, v150
	v_sub_f16_e32 v107, v107, v208
	v_mul_f16_e32 v220, 0x31e1, v88
	v_add_f16_e32 v24, v197, v24
	v_mul_f16_e32 v197, 0xbbdd, v92
	v_add_f16_e32 v143, v178, v143
	;; [unrolled: 2-line block ×3, first 2 shown]
	v_add_f16_e32 v159, v233, v159
	v_add_f16_e32 v107, v64, v107
	v_sub_f16_e32 v117, v117, v210
	v_mul_f16_e32 v230, 0x3bb2, v90
	v_sub_f16_e32 v178, v188, v178
	v_mul_f16_e32 v188, 0x2de8, v97
	v_add_f16_e32 v129, v159, v129
	v_add_f16_e32 v168, v197, v168
	;; [unrolled: 1-line block ×3, first 2 shown]
	v_sub_f16_e32 v117, v125, v220
	v_mul_f16_e32 v199, 0x3964, v94
	v_mul_f16_e32 v159, 0x3b76, v104
	v_add_f16_e32 v129, v168, v129
	v_add_f16_e32 v175, v188, v175
	;; [unrolled: 1-line block ×3, first 2 shown]
	v_sub_f16_e32 v117, v134, v230
	v_mul_f16_e32 v172, 0xb5c8, v100
	v_add_f16_e32 v129, v175, v129
	v_add_f16_e32 v159, v159, v182
	;; [unrolled: 1-line block ×3, first 2 shown]
	v_sub_f16_e32 v117, v145, v199
	v_mul_f16_e32 v223, 0xbbf7, v108
	v_add_f16_e32 v129, v159, v129
	v_mul_f16_e32 v159, 0xb8d2, v110
	v_add_f16_e32 v107, v117, v107
	v_sub_f16_e32 v117, v157, v172
	v_add_f16_e32 v159, v159, v187
	v_mul_f16_e32 v187, 0xb836, v115
	v_add_f16_e32 v107, v117, v107
	v_sub_f16_e32 v117, v167, v223
	v_add_f16_e32 v107, v117, v107
	v_sub_f16_e32 v117, v176, v187
	v_add_f16_e32 v107, v117, v107
	v_mul_f16_e32 v117, 0x3722, v83
	v_mul_f16_e32 v209, 0xb8d2, v85
	v_add_f16_e32 v103, v117, v103
	v_mul_f16_e32 v219, 0xbbdd, v87
	v_add_f16_e32 v103, v63, v103
	v_add_f16_e32 v112, v209, v112
	v_mul_f16_e32 v229, 0xb461, v89
	v_add_f16_e32 v103, v112, v103
	;; [unrolled: 3-line block ×6, first 2 shown]
	v_add_f16_e32 v112, v139, v162
	v_add_f16_e32 v103, v112, v103
	v_add_f16_e32 v112, v182, v171
	v_add_f16_e32 v103, v112, v103
	v_mul_f16_e32 v112, 0xb964, v84
	v_sub_f16_e32 v98, v98, v112
	v_mul_f16_e32 v112, 0xbbf7, v86
	v_add_f16_e32 v98, v64, v98
	v_sub_f16_e32 v105, v105, v112
	v_add_f16_e32 v98, v105, v98
	v_mul_f16_e32 v105, 0xba62, v88
	v_sub_f16_e32 v105, v116, v105
	v_add_f16_e32 v98, v105, v98
	v_mul_f16_e32 v105, 0xb1e1, v90
	v_mul_f16_e32 v238, 0x3836, v94
	v_sub_f16_e32 v105, v124, v105
	v_mul_f16_e32 v164, 0x3bb2, v100
	v_add_f16_e32 v98, v105, v98
	v_sub_f16_e32 v105, v133, v238
	v_mul_f16_e32 v213, 0x3b29, v108
	v_add_f16_e32 v98, v105, v98
	;; [unrolled: 3-line block ×3, first 2 shown]
	v_sub_f16_e32 v105, v156, v213
	v_add_f16_e32 v98, v105, v98
	v_sub_f16_e32 v105, v166, v175
	v_add_f16_e32 v98, v105, v98
	v_mul_f16_e32 v105, 0x39e9, v83
	v_add_f16_e32 v95, v105, v95
	v_mul_f16_e32 v105, 0x2de8, v85
	v_add_f16_e32 v95, v63, v95
	v_add_f16_e32 v101, v105, v101
	;; [unrolled: 1-line block ×3, first 2 shown]
	v_mul_f16_e32 v101, 0xb8d2, v87
	v_add_f16_e32 v101, v101, v111
	v_add_f16_e32 v95, v101, v95
	v_mul_f16_e32 v101, 0xbbdd, v89
	v_add_f16_e32 v101, v101, v120
	v_add_f16_e32 v95, v101, v95
	v_mul_f16_e32 v101, 0xbacd, v92
	v_mul_f16_e32 v224, 0xb461, v97
	v_add_f16_e32 v101, v101, v128
	v_mul_f16_e32 v203, 0x3722, v104
	v_add_f16_e32 v95, v101, v95
	v_add_f16_e32 v101, v224, v137
	v_mul_f16_e32 v188, 0x3b76, v110
	v_add_f16_e32 v95, v101, v95
	v_add_f16_e32 v101, v203, v149
	;; [unrolled: 1-line block ×5, first 2 shown]
	v_mul_f16_e32 v101, 0xb5c8, v84
	v_sub_f16_e32 v93, v93, v101
	v_mul_f16_e32 v101, 0xb964, v86
	v_add_f16_e32 v93, v64, v93
	v_sub_f16_e32 v99, v99, v101
	v_add_f16_e32 v93, v99, v93
	v_mul_f16_e32 v99, 0xbb29, v88
	v_sub_f16_e32 v99, v106, v99
	v_add_f16_e32 v93, v99, v93
	v_mul_f16_e32 v99, 0xbbf7, v90
	;; [unrolled: 3-line block ×3, first 2 shown]
	v_add_f16_e32 v93, v99, v93
	v_mul_f16_e32 v99, 0xbbb2, v94
	v_mul_f16_e32 v155, 0xba62, v100
	v_sub_f16_e32 v178, v191, v178
	v_sub_f16_e32 v99, v123, v99
	v_add_f16_e32 v143, v178, v143
	v_mul_f16_e32 v178, 0xb836, v108
	v_add_f16_e32 v93, v99, v93
	v_sub_f16_e32 v99, v132, v155
	v_add_f16_e32 v26, v65, v64
	v_mul_f16_e32 v168, 0xb1e1, v115
	v_add_f16_e32 v93, v99, v93
	v_sub_f16_e32 v99, v142, v178
	v_add_f16_e32 v26, v66, v26
	v_add_f16_e32 v93, v99, v93
	v_sub_f16_e32 v99, v154, v168
	v_add_f16_e32 v26, v67, v26
	v_add_f16_e32 v93, v99, v93
	v_mul_f16_e32 v99, 0x3b76, v83
	v_add_f16_e32 v26, v68, v26
	v_add_f16_e32 v91, v99, v91
	v_mul_f16_e32 v99, 0x39e9, v85
	v_add_f16_e32 v26, v73, v26
	v_add_f16_e32 v91, v63, v91
	;; [unrolled: 1-line block ×5, first 2 shown]
	v_mul_f16_e32 v96, 0x3722, v87
	v_add_f16_e32 v26, v76, v26
	v_add_f16_e32 v96, v96, v102
	v_add_f16_e32 v26, v74, v26
	v_mul_f16_e32 v201, 0x2de8, v83
	v_mul_f16_e32 v202, 0xbbf7, v84
	v_add_f16_e32 v91, v96, v91
	v_mul_f16_e32 v96, 0x2de8, v89
	v_add_f16_e32 v26, v71, v26
	v_mul_f16_e32 v211, 0xbbdd, v85
	v_mul_f16_e32 v212, 0xb1e1, v86
	v_sub_f16_e32 v118, v118, v202
	v_add_f16_e32 v113, v201, v113
	v_add_f16_e32 v96, v96, v109
	;; [unrolled: 1-line block ×3, first 2 shown]
	v_mul_f16_e32 v221, 0xb461, v87
	v_mul_f16_e32 v222, 0x3bb2, v88
	v_add_f16_e32 v118, v64, v118
	v_sub_f16_e32 v126, v126, v212
	v_add_f16_e32 v113, v63, v113
	v_add_f16_e32 v122, v211, v122
	;; [unrolled: 1-line block ×3, first 2 shown]
	v_mul_f16_e32 v96, 0xb461, v92
	v_add_f16_e32 v26, v72, v26
	v_mul_f16_e32 v231, 0x3b76, v89
	v_mul_f16_e32 v232, 0x35c8, v90
	;; [unrolled: 1-line block ×3, first 2 shown]
	v_add_f16_e32 v118, v126, v118
	v_sub_f16_e32 v126, v135, v222
	v_add_f16_e32 v113, v122, v113
	v_add_f16_e32 v122, v221, v131
	;; [unrolled: 1-line block ×4, first 2 shown]
	v_mul_f16_e32 v218, 0x3722, v92
	v_mul_f16_e32 v242, 0xbb29, v94
	;; [unrolled: 1-line block ×3, first 2 shown]
	v_add_f16_e32 v118, v126, v118
	v_sub_f16_e32 v126, v147, v232
	v_add_f16_e32 v113, v122, v113
	v_add_f16_e32 v122, v231, v141
	;; [unrolled: 1-line block ×5, first 2 shown]
	v_mul_f16_e32 v204, 0xbacd, v97
	v_mul_f16_e32 v184, 0xb836, v100
	;; [unrolled: 1-line block ×3, first 2 shown]
	v_add_f16_e32 v118, v126, v118
	v_sub_f16_e32 v126, v158, v242
	v_add_f16_e32 v113, v122, v113
	v_add_f16_e32 v122, v218, v152
	;; [unrolled: 1-line block ×5, first 2 shown]
	v_mul_f16_e32 v150, 0xb8d2, v104
	v_mul_f16_e32 v233, 0x3a62, v108
	v_add_f16_e32 v118, v126, v118
	v_sub_f16_e32 v126, v169, v184
	v_add_f16_e32 v113, v122, v113
	v_add_f16_e32 v122, v204, v163
	;; [unrolled: 1-line block ×6, first 2 shown]
	v_mul_f16_e32 v159, 0x39e9, v110
	v_mul_f16_e32 v202, 0x3964, v115
	v_add_f16_e32 v118, v126, v118
	v_sub_f16_e32 v126, v177, v233
	v_add_f16_e32 v113, v122, v113
	v_add_f16_e32 v122, v150, v173
	;; [unrolled: 1-line block ×5, first 2 shown]
	v_sub_f16_e32 v126, v183, v202
	v_add_f16_e32 v113, v122, v113
	v_add_f16_e32 v122, v159, v180
	s_waitcnt vmcnt(2)
	v_lshl_add_u32 v33, v33, 2, v241
	v_pack_b32_f16 v34, v91, v93
	v_pack_b32_f16 v25, v25, v26
	v_add_f16_e32 v118, v126, v118
	v_add_f16_e32 v113, v122, v113
	ds_write2_b32 v33, v25, v34 offset1:1
	v_pack_b32_f16 v25, v103, v107
	v_pack_b32_f16 v26, v95, v98
	ds_write2_b32 v33, v26, v25 offset0:2 offset1:3
	v_pack_b32_f16 v25, v129, v143
	v_pack_b32_f16 v26, v113, v118
	ds_write2_b32 v33, v26, v25 offset0:4 offset1:5
	buffer_load_dword v25, off, s[48:51], 0 offset:12 ; 4-byte Folded Reload
	buffer_load_dword v26, off, s[48:51], 0 offset:16 ; 4-byte Folded Reload
	s_mov_b32 s14, 0x5040100
	s_waitcnt vmcnt(0)
	v_pack_b32_f16 v25, v26, v25
	buffer_load_dword v26, off, s[48:51], 0 offset:20 ; 4-byte Folded Reload
	s_waitcnt vmcnt(0)
	v_pack_b32_f16 v24, v24, v26
	ds_write2_b32 v33, v24, v25 offset0:6 offset1:7
	buffer_load_dword v25, off, s[48:51], 0 ; 4-byte Folded Reload
	buffer_load_dword v26, off, s[48:51], 0 offset:4 ; 4-byte Folded Reload
	v_pack_b32_f16 v24, v28, v27
	s_waitcnt vmcnt(0)
	v_pack_b32_f16 v25, v26, v25
	ds_write2_b32 v33, v25, v24 offset0:8 offset1:9
	v_pack_b32_f16 v24, v32, v31
	v_pack_b32_f16 v25, v30, v29
	ds_write2_b32 v33, v25, v24 offset0:10 offset1:11
	v_perm_b32 v24, v80, v41, s14
	v_perm_b32 v25, v78, v77, s14
	ds_write2_b32 v33, v25, v24 offset0:12 offset1:13
	v_perm_b32 v24, v79, v43, s14
	v_perm_b32 v25, v82, v42, s14
	ds_write2_b32 v33, v25, v24 offset0:14 offset1:15
	v_perm_b32 v24, v81, v44, s14
	ds_write_b32 v33, v24 offset:64
.LBB0_17:
	s_or_b64 exec, exec, s[4:5]
	v_add_u32_e32 v24, 0x200, v50
	s_waitcnt lgkmcnt(0)
	s_barrier
	ds_read2_b32 v[27:28], v24 offset0:93 offset1:195
	v_add_u32_e32 v24, 0x600, v50
	ds_read2_b32 v[29:30], v24 offset0:58 offset1:160
	v_add_u32_e32 v24, 0x800, v50
	;; [unrolled: 2-line block ×4, first 2 shown]
	ds_read2_b32 v[25:26], v50 offset1:102
	ds_read2_b32 v[35:36], v24 offset0:81 offset1:183
	s_and_saveexec_b64 s[4:5], s[2:3]
	s_cbranch_execz .LBB0_19
; %bb.18:
	v_add_u32_e32 v24, 0x680, v50
	ds_read_b32 v77, v50 offset:816
	ds_read2_b32 v[41:42], v24 offset0:9 offset1:230
	v_add_u32_e32 v24, 0xd80, v50
	ds_read2_b32 v[43:44], v24 offset0:3 offset1:224
	ds_read_b32 v228, v50 offset:5236
	s_waitcnt lgkmcnt(3)
	v_lshrrev_b32_e32 v78, 16, v77
	s_waitcnt lgkmcnt(2)
	v_lshrrev_b32_e32 v80, 16, v41
	v_lshrrev_b32_e32 v82, 16, v42
	s_waitcnt lgkmcnt(1)
	v_lshrrev_b32_e32 v79, 16, v43
	;; [unrolled: 3-line block ×3, first 2 shown]
.LBB0_19:
	s_or_b64 exec, exec, s[4:5]
	s_waitcnt lgkmcnt(5)
	v_lshrrev_b32_e32 v37, 16, v27
	v_mul_f16_sdwa v61, v8, v37 dst_sel:DWORD dst_unused:UNUSED_PAD src0_sel:WORD_1 src1_sel:DWORD
	s_waitcnt lgkmcnt(4)
	v_lshrrev_b32_e32 v38, 16, v29
	v_fma_f16 v61, v8, v27, v61
	v_mul_f16_sdwa v27, v8, v27 dst_sel:DWORD dst_unused:UNUSED_PAD src0_sel:WORD_1 src1_sel:DWORD
	v_fma_f16 v8, v8, v37, -v27
	v_mul_f16_sdwa v27, v9, v38 dst_sel:DWORD dst_unused:UNUSED_PAD src0_sel:WORD_1 src1_sel:DWORD
	s_waitcnt lgkmcnt(3)
	v_lshrrev_b32_e32 v39, 16, v31
	v_fma_f16 v27, v9, v29, v27
	v_mul_f16_sdwa v29, v9, v29 dst_sel:DWORD dst_unused:UNUSED_PAD src0_sel:WORD_1 src1_sel:DWORD
	v_fma_f16 v9, v9, v38, -v29
	;; [unrolled: 6-line block ×3, first 2 shown]
	v_mul_f16_sdwa v31, v11, v40 dst_sel:DWORD dst_unused:UNUSED_PAD src0_sel:WORD_1 src1_sel:DWORD
	v_fma_f16 v31, v11, v33, v31
	v_mul_f16_sdwa v33, v11, v33 dst_sel:DWORD dst_unused:UNUSED_PAD src0_sel:WORD_1 src1_sel:DWORD
	s_waitcnt lgkmcnt(0)
	v_lshrrev_b32_e32 v45, 16, v35
	v_fma_f16 v11, v11, v40, -v33
	v_add_f16_e32 v39, v27, v31
	v_lshrrev_b32_e32 v24, 16, v25
	v_lshrrev_b32_e32 v49, 16, v28
	v_mul_f16_sdwa v33, v54, v45 dst_sel:DWORD dst_unused:UNUSED_PAD src0_sel:WORD_1 src1_sel:DWORD
	v_add_f16_e32 v38, v25, v27
	v_fma_f16 v25, v39, -0.5, v25
	v_sub_f16_e32 v39, v9, v11
	s_mov_b32 s14, 0xbaee
	s_movk_i32 s15, 0x3aee
	v_fma_f16 v33, v54, v35, v33
	v_mul_f16_sdwa v35, v54, v35 dst_sel:DWORD dst_unused:UNUSED_PAD src0_sel:WORD_1 src1_sel:DWORD
	v_mul_f16_sdwa v37, v4, v49 dst_sel:DWORD dst_unused:UNUSED_PAD src0_sel:WORD_1 src1_sel:DWORD
	v_fma_f16 v40, v39, s14, v25
	v_fma_f16 v25, v39, s15, v25
	v_add_f16_e32 v39, v24, v9
	v_lshrrev_b32_e32 v51, 16, v30
	v_fma_f16 v35, v54, v45, -v35
	v_fma_f16 v37, v4, v28, v37
	v_mul_f16_sdwa v28, v4, v28 dst_sel:DWORD dst_unused:UNUSED_PAD src0_sel:WORD_1 src1_sel:DWORD
	v_add_f16_e32 v39, v39, v11
	v_add_f16_e32 v9, v9, v11
	v_sub_f16_e32 v11, v27, v31
	v_add_f16_e32 v27, v29, v33
	v_fma_f16 v4, v4, v49, -v28
	v_mul_f16_sdwa v28, v5, v51 dst_sel:DWORD dst_unused:UNUSED_PAD src0_sel:WORD_1 src1_sel:DWORD
	v_add_f16_e32 v38, v38, v31
	v_fma_f16 v27, v27, -0.5, v61
	v_sub_f16_e32 v31, v10, v35
	v_lshrrev_b32_e32 v56, 16, v32
	v_fma_f16 v28, v5, v30, v28
	v_mul_f16_sdwa v30, v5, v30 dst_sel:DWORD dst_unused:UNUSED_PAD src0_sel:WORD_1 src1_sel:DWORD
	v_fma_f16 v45, v31, s14, v27
	v_fma_f16 v27, v31, s15, v27
	v_add_f16_e32 v31, v8, v10
	v_add_f16_e32 v10, v10, v35
	v_fma_f16 v5, v5, v51, -v30
	v_mul_f16_sdwa v30, v6, v56 dst_sel:DWORD dst_unused:UNUSED_PAD src0_sel:WORD_1 src1_sel:DWORD
	v_fma_f16 v9, v9, -0.5, v24
	v_fma_f16 v8, v10, -0.5, v8
	v_sub_f16_e32 v10, v29, v33
	v_lshrrev_b32_e32 v59, 16, v34
	v_fma_f16 v30, v6, v32, v30
	v_mul_f16_sdwa v32, v6, v32 dst_sel:DWORD dst_unused:UNUSED_PAD src0_sel:WORD_1 src1_sel:DWORD
	v_fma_f16 v24, v11, s15, v9
	v_fma_f16 v9, v11, s14, v9
	v_add_f16_e32 v11, v61, v29
	v_fma_f16 v29, v10, s15, v8
	v_fma_f16 v6, v6, v56, -v32
	v_mul_f16_sdwa v32, v7, v59 dst_sel:DWORD dst_unused:UNUSED_PAD src0_sel:WORD_1 src1_sel:DWORD
	v_add_f16_e32 v11, v11, v33
	v_fma_f16 v8, v10, s14, v8
	v_mul_f16_e32 v33, 0xbaee, v29
	v_mul_f16_e32 v29, 0.5, v29
	v_fma_f16 v32, v7, v34, v32
	v_mul_f16_sdwa v34, v7, v34 dst_sel:DWORD dst_unused:UNUSED_PAD src0_sel:WORD_1 src1_sel:DWORD
	v_mul_f16_e32 v49, 0xbaee, v8
	v_fma_f16 v29, v45, s15, v29
	v_mul_f16_e32 v8, -0.5, v8
	v_lshrrev_b32_e32 v60, 16, v36
	v_fma_f16 v7, v7, v59, -v34
	v_fma_f16 v33, v45, 0.5, v33
	v_add_f16_e32 v45, v24, v29
	v_fma_f16 v8, v27, s15, v8
	v_sub_f16_e32 v24, v24, v29
	v_add_f16_e32 v29, v28, v32
	v_lshrrev_b32_e32 v48, 16, v26
	v_mul_f16_sdwa v34, v53, v60 dst_sel:DWORD dst_unused:UNUSED_PAD src0_sel:WORD_1 src1_sel:DWORD
	v_fma_f16 v49, v27, -0.5, v49
	v_add_f16_e32 v27, v9, v8
	v_sub_f16_e32 v8, v9, v8
	v_add_f16_e32 v9, v26, v28
	v_fma_f16 v26, v29, -0.5, v26
	v_sub_f16_e32 v29, v5, v7
	v_fma_f16 v34, v53, v36, v34
	v_mul_f16_sdwa v36, v53, v36 dst_sel:DWORD dst_unused:UNUSED_PAD src0_sel:WORD_1 src1_sel:DWORD
	v_add_f16_e32 v10, v38, v11
	v_sub_f16_e32 v11, v38, v11
	v_fma_f16 v38, v29, s14, v26
	v_fma_f16 v26, v29, s15, v26
	v_add_f16_e32 v29, v48, v5
	v_add_f16_e32 v5, v5, v7
	v_fma_f16 v36, v53, v60, -v36
	v_add_f16_e32 v9, v9, v32
	v_add_f16_e32 v29, v29, v7
	v_fma_f16 v5, v5, -0.5, v48
	v_sub_f16_e32 v7, v28, v32
	v_add_f16_e32 v32, v30, v34
	v_add_f16_e32 v31, v31, v35
	v_fma_f16 v28, v7, s15, v5
	v_fma_f16 v5, v7, s14, v5
	v_add_f16_e32 v7, v37, v30
	v_fma_f16 v32, v32, -0.5, v37
	v_sub_f16_e32 v37, v6, v36
	v_add_f16_e32 v53, v39, v31
	v_sub_f16_e32 v31, v39, v31
	v_fma_f16 v39, v37, s14, v32
	v_fma_f16 v32, v37, s15, v32
	v_add_f16_e32 v37, v4, v6
	v_add_f16_e32 v6, v6, v36
	v_fma_f16 v4, v6, -0.5, v4
	v_sub_f16_e32 v6, v30, v34
	v_fma_f16 v30, v6, s15, v4
	v_fma_f16 v4, v6, s14, v4
	v_add_f16_e32 v35, v40, v33
	v_sub_f16_e32 v33, v40, v33
	v_mul_f16_e32 v40, 0xbaee, v4
	v_mul_f16_e32 v4, -0.5, v4
	v_fma_f16 v4, v32, s15, v4
	v_add_f16_e32 v51, v25, v49
	v_add_f16_e32 v7, v7, v34
	v_mul_f16_e32 v34, 0xbaee, v30
	v_fma_f16 v40, v32, -0.5, v40
	v_mul_f16_e32 v30, 0.5, v30
	v_add_f16_e32 v32, v5, v4
	v_sub_f16_e32 v4, v5, v4
	v_pack_b32_f16 v5, v10, v53
	v_pack_b32_f16 v10, v35, v45
	v_sub_f16_e32 v25, v25, v49
	v_add_f16_e32 v37, v37, v36
	v_fma_f16 v34, v39, 0.5, v34
	v_fma_f16 v30, v39, s15, v30
	s_barrier
	ds_write2_b32 v57, v5, v10 offset1:17
	v_pack_b32_f16 v5, v51, v27
	v_pack_b32_f16 v10, v11, v31
	v_add_f16_e32 v6, v9, v7
	v_add_f16_e32 v36, v38, v34
	v_add_f16_e32 v49, v29, v37
	v_add_f16_e32 v39, v28, v30
	ds_write2_b32 v57, v5, v10 offset0:34 offset1:51
	v_pack_b32_f16 v5, v33, v24
	v_pack_b32_f16 v8, v25, v8
	v_add_f16_e32 v48, v26, v40
	v_sub_f16_e32 v7, v9, v7
	v_sub_f16_e32 v29, v29, v37
	ds_write2_b32 v57, v5, v8 offset0:68 offset1:85
	v_pack_b32_f16 v5, v6, v49
	v_pack_b32_f16 v6, v36, v39
	v_sub_f16_e32 v9, v38, v34
	v_sub_f16_e32 v26, v26, v40
	;; [unrolled: 1-line block ×3, first 2 shown]
	ds_write2_b32 v58, v5, v6 offset1:17
	v_pack_b32_f16 v5, v48, v32
	v_pack_b32_f16 v6, v7, v29
	ds_write2_b32 v58, v5, v6 offset0:34 offset1:51
	v_pack_b32_f16 v5, v9, v28
	v_pack_b32_f16 v4, v26, v4
	ds_write2_b32 v58, v5, v4 offset0:68 offset1:85
	s_and_saveexec_b64 s[4:5], s[2:3]
	s_cbranch_execz .LBB0_21
; %bb.20:
	v_mul_f16_sdwa v10, v2, v79 dst_sel:DWORD dst_unused:UNUSED_PAD src0_sel:WORD_1 src1_sel:DWORD
	v_mul_f16_sdwa v25, v2, v43 dst_sel:DWORD dst_unused:UNUSED_PAD src0_sel:WORD_1 src1_sel:DWORD
	v_mul_f16_sdwa v4, v1, v42 dst_sel:DWORD dst_unused:UNUSED_PAD src0_sel:WORD_1 src1_sel:DWORD
	v_mul_f16_sdwa v5, v3, v44 dst_sel:DWORD dst_unused:UNUSED_PAD src0_sel:WORD_1 src1_sel:DWORD
	v_mul_f16_sdwa v7, v1, v82 dst_sel:DWORD dst_unused:UNUSED_PAD src0_sel:WORD_1 src1_sel:DWORD
	v_fma_f16 v10, v2, v43, v10
	v_mul_f16_sdwa v11, v52, v55 dst_sel:DWORD dst_unused:UNUSED_PAD src0_sel:WORD_1 src1_sel:DWORD
	v_fma_f16 v2, v2, v79, -v25
	v_mul_f16_sdwa v25, v52, v228 dst_sel:DWORD dst_unused:UNUSED_PAD src0_sel:WORD_1 src1_sel:DWORD
	v_fma_f16 v4, v1, v82, -v4
	v_fma_f16 v5, v3, v81, -v5
	v_fma_f16 v1, v1, v42, v7
	v_mul_f16_sdwa v7, v3, v81 dst_sel:DWORD dst_unused:UNUSED_PAD src0_sel:WORD_1 src1_sel:DWORD
	v_mul_f16_sdwa v9, v0, v80 dst_sel:DWORD dst_unused:UNUSED_PAD src0_sel:WORD_1 src1_sel:DWORD
	v_fma_f16 v11, v52, v228, v11
	v_fma_f16 v25, v52, v55, -v25
	v_mul_f16_sdwa v28, v0, v41 dst_sel:DWORD dst_unused:UNUSED_PAD src0_sel:WORD_1 src1_sel:DWORD
	v_add_f16_e32 v6, v4, v5
	v_fma_f16 v3, v3, v44, v7
	v_fma_f16 v9, v0, v41, v9
	v_add_f16_e32 v24, v10, v11
	v_fma_f16 v0, v0, v80, -v28
	v_add_f16_e32 v28, v2, v25
	v_fma_f16 v6, v6, -0.5, v78
	v_sub_f16_e32 v7, v1, v3
	v_fma_f16 v24, v24, -0.5, v9
	v_sub_f16_e32 v26, v2, v25
	;; [unrolled: 2-line block ×3, first 2 shown]
	v_add_f16_e32 v0, v0, v2
	v_fma_f16 v8, v7, s14, v6
	v_fma_f16 v27, v26, s15, v24
	;; [unrolled: 1-line block ×5, first 2 shown]
	v_add_f16_e32 v0, v0, v25
	v_add_f16_e32 v25, v1, v3
	;; [unrolled: 1-line block ×3, first 2 shown]
	v_fma_f16 v30, v29, s14, v28
	v_mul_f16_e32 v26, 0.5, v24
	v_add_f16_e32 v29, v78, v4
	v_fma_f16 v25, v25, -0.5, v77
	v_sub_f16_e32 v4, v4, v5
	v_mul_f16_e32 v24, 0xbaee, v24
	v_add_f16_e32 v1, v1, v3
	v_add_f16_e32 v3, v9, v10
	v_mul_f16_e32 v31, -0.5, v30
	v_fma_f16 v26, v7, s15, v26
	v_add_f16_e32 v29, v29, v5
	v_fma_f16 v5, v4, s15, v25
	v_mul_f16_e32 v30, 0xbaee, v30
	v_fma_f16 v4, v4, s14, v25
	v_fma_f16 v7, v7, 0.5, v24
	v_add_f16_e32 v3, v3, v11
	v_fma_f16 v31, v27, s15, v31
	v_sub_f16_e32 v28, v6, v26
	v_sub_f16_e32 v2, v29, v0
	v_fma_f16 v27, v27, -0.5, v30
	v_sub_f16_e32 v24, v4, v7
	v_sub_f16_e32 v9, v1, v3
	v_add_f16_e32 v6, v6, v26
	v_add_f16_e32 v0, v29, v0
	;; [unrolled: 1-line block ×4, first 2 shown]
	v_lshl_add_u32 v3, v237, 2, v241
	v_sub_f16_e32 v32, v8, v31
	v_sub_f16_e32 v30, v5, v27
	v_add_f16_e32 v8, v8, v31
	v_add_f16_e32 v5, v5, v27
	v_pack_b32_f16 v0, v1, v0
	v_pack_b32_f16 v1, v4, v6
	v_add_u32_e32 v4, 0x1000, v3
	ds_write2_b32 v4, v0, v1 offset0:200 offset1:217
	v_pack_b32_f16 v0, v5, v8
	v_pack_b32_f16 v1, v9, v2
	ds_write2_b32 v4, v0, v1 offset0:234 offset1:251
	v_pack_b32_f16 v0, v24, v28
	v_pack_b32_f16 v1, v30, v32
	v_add_u32_e32 v2, 0x1400, v3
	ds_write2_b32 v2, v0, v1 offset0:12 offset1:29
.LBB0_21:
	s_or_b64 exec, exec, s[4:5]
	s_waitcnt lgkmcnt(0)
	s_barrier
	ds_read2_b32 v[0:1], v50 offset1:102
	v_add_u32_e32 v2, 0x200, v50
	ds_read2_b32 v[2:3], v2 offset0:76 offset1:178
	v_add_u32_e32 v4, 0x400, v50
	ds_read2_b32 v[4:5], v4 offset0:152 offset1:254
	s_waitcnt lgkmcnt(2)
	v_lshrrev_b32_e32 v24, 16, v1
	v_mul_f16_sdwa v37, v12, v24 dst_sel:DWORD dst_unused:UNUSED_PAD src0_sel:WORD_1 src1_sel:DWORD
	s_waitcnt lgkmcnt(1)
	v_lshrrev_b32_e32 v25, 16, v2
	v_fma_f16 v37, v12, v1, v37
	v_mul_f16_sdwa v1, v12, v1 dst_sel:DWORD dst_unused:UNUSED_PAD src0_sel:WORD_1 src1_sel:DWORD
	v_fma_f16 v1, v12, v24, -v1
	v_mul_f16_sdwa v12, v13, v25 dst_sel:DWORD dst_unused:UNUSED_PAD src0_sel:WORD_1 src1_sel:DWORD
	v_add_u32_e32 v6, 0x800, v50
	v_lshrrev_b32_e32 v26, 16, v3
	v_fma_f16 v12, v13, v2, v12
	v_mul_f16_sdwa v2, v13, v2 dst_sel:DWORD dst_unused:UNUSED_PAD src0_sel:WORD_1 src1_sel:DWORD
	ds_read2_b32 v[6:7], v6 offset0:100 offset1:202
	v_fma_f16 v2, v13, v25, -v2
	v_mul_f16_sdwa v13, v14, v26 dst_sel:DWORD dst_unused:UNUSED_PAD src0_sel:WORD_1 src1_sel:DWORD
	s_waitcnt lgkmcnt(1)
	v_lshrrev_b32_e32 v27, 16, v4
	v_fma_f16 v13, v14, v3, v13
	v_mul_f16_sdwa v3, v14, v3 dst_sel:DWORD dst_unused:UNUSED_PAD src0_sel:WORD_1 src1_sel:DWORD
	v_fma_f16 v3, v14, v26, -v3
	v_mul_f16_sdwa v14, v15, v27 dst_sel:DWORD dst_unused:UNUSED_PAD src0_sel:WORD_1 src1_sel:DWORD
	v_lshrrev_b32_e32 v28, 16, v5
	v_add_u32_e32 v8, 0xc00, v50
	v_fma_f16 v14, v15, v4, v14
	v_mul_f16_sdwa v4, v15, v4 dst_sel:DWORD dst_unused:UNUSED_PAD src0_sel:WORD_1 src1_sel:DWORD
	ds_read2_b32 v[8:9], v8 offset0:48 offset1:150
	v_fma_f16 v4, v15, v27, -v4
	v_mul_f16_sdwa v15, v16, v28 dst_sel:DWORD dst_unused:UNUSED_PAD src0_sel:WORD_1 src1_sel:DWORD
	s_waitcnt lgkmcnt(1)
	v_lshrrev_b32_e32 v29, 16, v6
	v_fma_f16 v15, v16, v5, v15
	v_mul_f16_sdwa v5, v16, v5 dst_sel:DWORD dst_unused:UNUSED_PAD src0_sel:WORD_1 src1_sel:DWORD
	v_fma_f16 v5, v16, v28, -v5
	v_mul_f16_sdwa v16, v17, v29 dst_sel:DWORD dst_unused:UNUSED_PAD src0_sel:WORD_1 src1_sel:DWORD
	v_add_u32_e32 v10, 0xe00, v50
	v_lshrrev_b32_e32 v30, 16, v7
	v_fma_f16 v16, v17, v6, v16
	v_mul_f16_sdwa v6, v17, v6 dst_sel:DWORD dst_unused:UNUSED_PAD src0_sel:WORD_1 src1_sel:DWORD
	ds_read2_b32 v[10:11], v10 offset0:124 offset1:226
	v_fma_f16 v6, v17, v29, -v6
	v_mul_f16_sdwa v17, v18, v30 dst_sel:DWORD dst_unused:UNUSED_PAD src0_sel:WORD_1 src1_sel:DWORD
	s_waitcnt lgkmcnt(1)
	v_lshrrev_b32_e32 v32, 16, v8
	v_fma_f16 v17, v18, v7, v17
	v_mul_f16_sdwa v7, v18, v7 dst_sel:DWORD dst_unused:UNUSED_PAD src0_sel:WORD_1 src1_sel:DWORD
	v_fma_f16 v7, v18, v30, -v7
	v_mul_f16_sdwa v18, v19, v32 dst_sel:DWORD dst_unused:UNUSED_PAD src0_sel:WORD_1 src1_sel:DWORD
	v_lshrrev_b32_e32 v33, 16, v9
	v_fma_f16 v18, v19, v8, v18
	v_mul_f16_sdwa v8, v19, v8 dst_sel:DWORD dst_unused:UNUSED_PAD src0_sel:WORD_1 src1_sel:DWORD
	ds_read_b32 v31, v50 offset:4896
	v_fma_f16 v8, v19, v32, -v8
	v_mul_f16_sdwa v19, v20, v33 dst_sel:DWORD dst_unused:UNUSED_PAD src0_sel:WORD_1 src1_sel:DWORD
	s_waitcnt lgkmcnt(1)
	v_lshrrev_b32_e32 v34, 16, v10
	v_fma_f16 v19, v20, v9, v19
	v_mul_f16_sdwa v9, v20, v9 dst_sel:DWORD dst_unused:UNUSED_PAD src0_sel:WORD_1 src1_sel:DWORD
	v_fma_f16 v9, v20, v33, -v9
	v_mul_f16_sdwa v20, v21, v34 dst_sel:DWORD dst_unused:UNUSED_PAD src0_sel:WORD_1 src1_sel:DWORD
	v_lshrrev_b32_e32 v35, 16, v11
	v_fma_f16 v20, v21, v10, v20
	v_mul_f16_sdwa v10, v21, v10 dst_sel:DWORD dst_unused:UNUSED_PAD src0_sel:WORD_1 src1_sel:DWORD
	v_fma_f16 v10, v21, v34, -v10
	v_mul_f16_sdwa v21, v22, v35 dst_sel:DWORD dst_unused:UNUSED_PAD src0_sel:WORD_1 src1_sel:DWORD
	s_waitcnt lgkmcnt(0)
	v_lshrrev_b32_e32 v36, 16, v31
	v_fma_f16 v21, v22, v11, v21
	v_mul_f16_sdwa v11, v22, v11 dst_sel:DWORD dst_unused:UNUSED_PAD src0_sel:WORD_1 src1_sel:DWORD
	v_fma_f16 v11, v22, v35, -v11
	v_mul_f16_sdwa v22, v23, v36 dst_sel:DWORD dst_unused:UNUSED_PAD src0_sel:WORD_1 src1_sel:DWORD
	v_mul_f16_sdwa v24, v23, v31 dst_sel:DWORD dst_unused:UNUSED_PAD src0_sel:WORD_1 src1_sel:DWORD
	v_fma_f16 v22, v23, v31, v22
	v_fma_f16 v23, v23, v36, -v24
	v_add_f16_e32 v24, v0, v37
	v_add_f16_sdwa v25, v0, v1 dst_sel:DWORD dst_unused:UNUSED_PAD src0_sel:WORD_1 src1_sel:DWORD
	v_add_f16_e32 v24, v24, v12
	v_add_f16_e32 v25, v25, v2
	;; [unrolled: 1-line block ×21, first 2 shown]
	v_sub_f16_e32 v1, v1, v23
	v_add_f16_e32 v24, v24, v22
	v_add_f16_e32 v25, v25, v23
	;; [unrolled: 1-line block ×3, first 2 shown]
	v_sub_f16_e32 v22, v37, v22
	s_mov_b32 s16, 0xb770
	v_mul_f16_e32 v23, 0xb770, v1
	s_movk_i32 s17, 0x3b15
	v_mul_f16_e32 v29, 0x3b15, v27
	s_movk_i32 s18, 0x3770
	s_mov_b32 s5, 0xba95
	v_mul_f16_e32 v31, 0xba95, v1
	s_movk_i32 s14, 0x388b
	v_mul_f16_e32 v33, 0x388b, v27
	s_movk_i32 s15, 0x3a95
	;; [unrolled: 5-line block ×3, first 2 shown]
	s_mov_b32 s19, 0xbb7b
	v_mul_f16_e32 v39, 0xbb7b, v1
	s_mov_b32 s20, 0xb5ac
	v_mul_f16_e32 v41, 0xb5ac, v27
	s_movk_i32 s21, 0x3b7b
	s_mov_b32 s22, 0xb94e
	v_mul_f16_e32 v43, 0xb94e, v1
	s_mov_b32 s23, 0xb9fd
	v_mul_f16_e32 v45, 0xb9fd, v27
	s_movk_i32 s24, 0x394e
	;; [unrolled: 5-line block ×3, first 2 shown]
	v_fma_f16 v28, v26, s17, v23
	v_fma_f16 v30, v22, s18, v29
	v_fma_f16 v23, v26, s17, -v23
	v_fma_f16 v29, v22, s16, v29
	v_fma_f16 v32, v26, s14, v31
	v_fma_f16 v34, v22, s15, v33
	v_fma_f16 v31, v26, s14, -v31
	v_fma_f16 v33, v22, s5, v33
	;; [unrolled: 4-line block ×6, first 2 shown]
	v_add_f16_e32 v26, v2, v11
	v_sub_f16_e32 v2, v2, v11
	v_add_f16_e32 v28, v0, v28
	v_add_f16_sdwa v30, v0, v30 dst_sel:DWORD dst_unused:UNUSED_PAD src0_sel:WORD_1 src1_sel:DWORD
	v_add_f16_e32 v23, v0, v23
	v_add_f16_sdwa v29, v0, v29 dst_sel:DWORD dst_unused:UNUSED_PAD src0_sel:WORD_1 src1_sel:DWORD
	;; [unrolled: 2-line block ×12, first 2 shown]
	v_add_f16_e32 v22, v12, v21
	v_mul_f16_e32 v11, 0xba95, v2
	v_sub_f16_e32 v12, v12, v21
	v_fma_f16 v21, v22, s14, v11
	v_mul_f16_e32 v27, 0x388b, v26
	v_fma_f16 v11, v22, s14, -v11
	v_add_f16_e32 v21, v21, v28
	v_fma_f16 v28, v12, s15, v27
	v_add_f16_e32 v11, v11, v23
	v_fma_f16 v23, v12, s5, v27
	v_mul_f16_e32 v27, 0xbb7b, v2
	v_add_f16_e32 v28, v28, v30
	v_add_f16_e32 v23, v23, v29
	v_fma_f16 v29, v22, s20, v27
	v_mul_f16_e32 v30, 0xb5ac, v26
	v_fma_f16 v27, v22, s20, -v27
	v_add_f16_e32 v29, v29, v32
	v_fma_f16 v32, v12, s21, v30
	v_add_f16_e32 v27, v27, v31
	v_fma_f16 v30, v12, s19, v30
	v_mul_f16_e32 v31, 0xb3a8, v2
	v_add_f16_e32 v32, v32, v34
	v_add_f16_e32 v30, v30, v33
	;; [unrolled: 10-line block ×4, first 2 shown]
	v_fma_f16 v41, v22, s3, v39
	v_mul_f16_e32 v42, 0x2fb7, v26
	v_fma_f16 v39, v22, s3, -v39
	v_mul_f16_e32 v2, 0x3770, v2
	v_add_f16_e32 v41, v41, v44
	v_fma_f16 v44, v12, s2, v42
	v_add_f16_e32 v39, v39, v43
	v_fma_f16 v42, v12, s4, v42
	v_fma_f16 v43, v22, s17, v2
	v_mul_f16_e32 v26, 0x3b15, v26
	v_fma_f16 v2, v22, s17, -v2
	v_add_f16_e32 v42, v42, v45
	v_fma_f16 v45, v12, s16, v26
	v_add_f16_e32 v1, v2, v1
	v_fma_f16 v2, v12, s18, v26
	v_add_f16_e32 v12, v3, v10
	v_sub_f16_e32 v3, v3, v10
	v_add_f16_e32 v0, v2, v0
	v_add_f16_e32 v2, v13, v20
	v_mul_f16_e32 v10, 0xbbf1, v3
	v_sub_f16_e32 v13, v13, v20
	v_fma_f16 v20, v2, s3, v10
	v_add_f16_e32 v20, v20, v21
	v_mul_f16_e32 v21, 0x2fb7, v12
	v_fma_f16 v10, v2, s3, -v10
	v_fma_f16 v22, v13, s4, v21
	v_add_f16_e32 v10, v10, v11
	v_fma_f16 v11, v13, s2, v21
	v_mul_f16_e32 v21, 0xb3a8, v3
	v_add_f16_e32 v11, v11, v23
	v_fma_f16 v23, v2, s26, v21
	v_fma_f16 v21, v2, s26, -v21
	v_mul_f16_e32 v26, 0xbbc4, v12
	v_add_f16_e32 v21, v21, v27
	v_mul_f16_e32 v27, 0x3b7b, v3
	v_add_f16_e32 v22, v22, v28
	v_add_f16_e32 v23, v23, v29
	v_fma_f16 v28, v13, s27, v26
	v_fma_f16 v26, v13, s25, v26
	;; [unrolled: 1-line block ×3, first 2 shown]
	v_fma_f16 v27, v2, s20, -v27
	v_add_f16_e32 v26, v26, v30
	v_mul_f16_e32 v30, 0xb5ac, v12
	v_add_f16_e32 v27, v27, v31
	v_mul_f16_e32 v31, 0x3770, v3
	v_add_f16_e32 v28, v28, v32
	v_add_f16_e32 v29, v29, v33
	v_fma_f16 v32, v13, s19, v30
	v_fma_f16 v30, v13, s21, v30
	;; [unrolled: 1-line block ×3, first 2 shown]
	v_fma_f16 v31, v2, s17, -v31
	v_add_f16_e32 v30, v30, v34
	v_mul_f16_e32 v34, 0x3b15, v12
	v_add_f16_e32 v31, v31, v35
	v_mul_f16_e32 v35, 0xba95, v3
	v_add_f16_e32 v32, v32, v36
	v_add_f16_e32 v33, v33, v37
	v_fma_f16 v36, v13, s16, v34
	v_fma_f16 v34, v13, s18, v34
	;; [unrolled: 1-line block ×3, first 2 shown]
	v_fma_f16 v35, v2, s14, -v35
	v_mul_f16_e32 v3, 0xb94e, v3
	v_add_f16_e32 v34, v34, v38
	v_mul_f16_e32 v38, 0x388b, v12
	v_add_f16_e32 v35, v35, v39
	v_fma_f16 v39, v2, s23, v3
	v_mul_f16_e32 v12, 0xb9fd, v12
	v_fma_f16 v2, v2, s23, -v3
	v_add_f16_e32 v1, v2, v1
	v_fma_f16 v2, v13, s22, v12
	v_add_f16_e32 v3, v4, v9
	v_sub_f16_e32 v4, v4, v9
	v_add_f16_e32 v0, v2, v0
	v_add_f16_e32 v2, v14, v19
	v_mul_f16_e32 v9, 0xbb7b, v4
	v_add_f16_e32 v36, v36, v40
	v_add_f16_e32 v37, v37, v41
	v_fma_f16 v40, v13, s15, v38
	v_fma_f16 v38, v13, s5, v38
	;; [unrolled: 1-line block ×3, first 2 shown]
	v_sub_f16_e32 v12, v14, v19
	v_fma_f16 v13, v2, s20, v9
	v_mul_f16_e32 v14, 0xb5ac, v3
	v_fma_f16 v9, v2, s20, -v9
	v_add_f16_e32 v9, v9, v10
	v_fma_f16 v10, v12, s19, v14
	v_add_f16_e32 v10, v10, v11
	v_mul_f16_e32 v11, 0x394e, v4
	v_fma_f16 v19, v12, s21, v14
	v_fma_f16 v14, v2, s23, v11
	v_fma_f16 v11, v2, s23, -v11
	v_add_f16_e32 v13, v13, v20
	v_mul_f16_e32 v20, 0xb9fd, v3
	v_add_f16_e32 v11, v11, v21
	v_mul_f16_e32 v21, 0x3770, v4
	v_add_f16_e32 v19, v19, v22
	v_add_f16_e32 v14, v14, v23
	v_fma_f16 v22, v12, s22, v20
	v_fma_f16 v20, v12, s24, v20
	v_fma_f16 v23, v2, s17, v21
	v_fma_f16 v21, v2, s17, -v21
	v_add_f16_e32 v20, v20, v26
	v_mul_f16_e32 v26, 0x3b15, v3
	v_add_f16_e32 v21, v21, v27
	v_mul_f16_e32 v27, 0xbbf1, v4
	v_add_f16_e32 v22, v22, v28
	v_add_f16_e32 v23, v23, v29
	v_fma_f16 v28, v12, s16, v26
	;; [unrolled: 10-line block ×3, first 2 shown]
	v_fma_f16 v30, v12, s2, v30
	v_fma_f16 v33, v2, s26, v31
	v_fma_f16 v31, v2, s26, -v31
	v_mul_f16_e32 v4, 0x3a95, v4
	v_add_f16_e32 v30, v30, v34
	v_mul_f16_e32 v34, 0xbbc4, v3
	v_add_f16_e32 v31, v31, v35
	v_fma_f16 v35, v2, s14, v4
	v_mul_f16_e32 v3, 0x388b, v3
	v_fma_f16 v2, v2, s14, -v4
	v_add_f16_e32 v33, v33, v37
	v_fma_f16 v37, v12, s5, v3
	v_add_f16_e32 v1, v2, v1
	v_fma_f16 v2, v12, s15, v3
	v_add_f16_e32 v3, v5, v8
	v_sub_f16_e32 v5, v5, v8
	v_add_f16_e32 v0, v2, v0
	v_add_f16_e32 v2, v15, v18
	v_mul_f16_e32 v8, 0xb94e, v5
	v_add_f16_e32 v32, v32, v36
	v_fma_f16 v36, v12, s25, v34
	v_fma_f16 v34, v12, s27, v34
	;; [unrolled: 1-line block ×3, first 2 shown]
	v_sub_f16_e32 v4, v15, v18
	v_add_f16_e32 v12, v12, v13
	v_mul_f16_e32 v13, 0xb9fd, v3
	v_fma_f16 v8, v2, s23, -v8
	v_add_f16_e32 v8, v8, v9
	v_fma_f16 v9, v4, s22, v13
	v_add_f16_e32 v9, v9, v10
	v_mul_f16_e32 v10, 0x3bf1, v5
	v_fma_f16 v15, v4, s24, v13
	v_fma_f16 v13, v2, s3, v10
	v_add_f16_e32 v13, v13, v14
	v_mul_f16_e32 v14, 0x2fb7, v3
	v_fma_f16 v10, v2, s3, -v10
	v_fma_f16 v18, v4, s2, v14
	v_add_f16_e32 v10, v10, v11
	v_fma_f16 v11, v4, s4, v14
	v_mul_f16_e32 v14, 0xba95, v5
	v_add_f16_e32 v15, v15, v19
	v_fma_f16 v19, v2, s14, v14
	v_fma_f16 v14, v2, s14, -v14
	v_add_f16_e32 v11, v11, v20
	v_mul_f16_e32 v20, 0x388b, v3
	v_add_f16_e32 v14, v14, v21
	v_mul_f16_e32 v21, 0x33a8, v5
	v_add_f16_e32 v18, v18, v22
	v_add_f16_e32 v19, v19, v23
	v_fma_f16 v22, v4, s15, v20
	v_fma_f16 v20, v4, s5, v20
	;; [unrolled: 1-line block ×3, first 2 shown]
	v_fma_f16 v21, v2, s26, -v21
	v_add_f16_e32 v20, v20, v26
	v_mul_f16_e32 v26, 0xbbc4, v3
	v_add_f16_e32 v21, v21, v27
	v_mul_f16_e32 v27, 0x3770, v5
	v_add_f16_e32 v22, v22, v28
	v_add_f16_e32 v23, v23, v29
	v_fma_f16 v28, v4, s25, v26
	v_fma_f16 v26, v4, s27, v26
	v_fma_f16 v29, v2, s17, v27
	v_fma_f16 v27, v2, s17, -v27
	v_mul_f16_e32 v5, 0xbb7b, v5
	v_add_f16_e32 v26, v26, v30
	v_mul_f16_e32 v30, 0x3b15, v3
	v_add_f16_e32 v27, v27, v31
	v_fma_f16 v31, v2, s20, v5
	v_mul_f16_e32 v3, 0xb5ac, v3
	v_fma_f16 v2, v2, s20, -v5
	v_add_f16_e32 v1, v2, v1
	v_fma_f16 v2, v4, s19, v3
	v_sub_f16_e32 v5, v6, v7
	v_add_f16_e32 v29, v29, v33
	v_fma_f16 v33, v4, s21, v3
	v_add_f16_e32 v0, v2, v0
	v_add_f16_e32 v2, v16, v17
	v_add_f16_e32 v3, v6, v7
	v_mul_f16_e32 v6, 0xb3a8, v5
	v_fma_f16 v7, v2, s26, v6
	v_add_f16_e32 v28, v28, v32
	v_fma_f16 v32, v4, s16, v30
	v_fma_f16 v30, v4, s18, v30
	v_sub_f16_e32 v4, v16, v17
	v_add_f16_e32 v7, v7, v12
	v_mul_f16_e32 v12, 0xbbc4, v3
	v_fma_f16 v6, v2, s26, -v6
	v_add_f16_e32 v6, v6, v8
	v_fma_f16 v8, v4, s25, v12
	v_add_f16_e32 v8, v8, v9
	v_mul_f16_e32 v9, 0x3770, v5
	v_fma_f16 v16, v4, s27, v12
	v_fma_f16 v12, v2, s17, v9
	v_add_f16_e32 v12, v12, v13
	v_mul_f16_e32 v13, 0x3b15, v3
	v_fma_f16 v9, v2, s17, -v9
	v_add_f16_e32 v9, v9, v10
	v_fma_f16 v10, v4, s18, v13
	v_add_f16_e32 v10, v10, v11
	v_mul_f16_e32 v11, 0xb94e, v5
	v_add_f16_e32 v15, v16, v15
	v_fma_f16 v16, v4, s16, v13
	v_fma_f16 v13, v2, s23, v11
	v_mul_f16_e32 v17, 0xb9fd, v3
	v_fma_f16 v11, v2, s23, -v11
	v_add_f16_e32 v16, v16, v18
	v_fma_f16 v18, v4, s24, v17
	v_add_f16_e32 v11, v11, v14
	v_fma_f16 v14, v4, s22, v17
	v_mul_f16_e32 v17, 0x3a95, v5
	v_add_f16_e32 v13, v13, v19
	v_fma_f16 v19, v2, s14, v17
	v_fma_f16 v17, v2, s14, -v17
	v_add_f16_e32 v14, v14, v20
	v_mul_f16_e32 v20, 0x388b, v3
	v_add_f16_e32 v17, v17, v21
	v_mul_f16_e32 v21, 0xbb7b, v5
	v_add_f16_e32 v18, v18, v22
	v_add_f16_e32 v19, v19, v23
	v_fma_f16 v22, v4, s5, v20
	v_fma_f16 v20, v4, s15, v20
	;; [unrolled: 1-line block ×3, first 2 shown]
	v_fma_f16 v21, v2, s20, -v21
	v_mul_f16_e32 v5, 0x3bf1, v5
	v_add_f16_e32 v44, v44, v48
	v_add_f16_e32 v43, v43, v49
	v_add_f16_e32 v45, v45, v50
	v_add_f16_e32 v20, v20, v26
	v_mul_f16_e32 v26, 0xb5ac, v3
	v_add_f16_e32 v21, v21, v27
	v_fma_f16 v27, v2, s3, v5
	v_mul_f16_e32 v3, 0x2fb7, v3
	v_fma_f16 v2, v2, s3, -v5
	v_add_f16_e32 v40, v40, v44
	v_add_f16_e32 v39, v39, v43
	;; [unrolled: 1-line block ×4, first 2 shown]
	v_fma_f16 v2, v4, s4, v3
	v_add_f16_e32 v38, v38, v42
	v_add_f16_e32 v36, v36, v40
	;; [unrolled: 1-line block ×5, first 2 shown]
	v_pack_b32_f16 v2, v24, v25
	v_add_f16_e32 v34, v34, v38
	v_add_f16_e32 v32, v32, v36
	;; [unrolled: 1-line block ×6, first 2 shown]
	v_fma_f16 v28, v4, s21, v26
	v_fma_f16 v29, v4, s2, v3
	ds_write_b32 v47, v2
	v_pack_b32_f16 v2, v7, v15
	v_pack_b32_f16 v3, v12, v16
	v_add_f16_e32 v30, v30, v34
	v_add_f16_e32 v28, v28, v32
	v_fma_f16 v26, v4, s19, v26
	v_add_f16_e32 v27, v27, v31
	v_add_f16_e32 v29, v29, v33
	ds_write2_b32 v47, v2, v3 offset0:102 offset1:204
	v_pack_b32_f16 v2, v13, v18
	v_pack_b32_f16 v3, v19, v22
	v_add_u32_e32 v4, 0x400, v47
	v_add_f16_e32 v26, v26, v30
	ds_write2_b32 v4, v2, v3 offset0:50 offset1:152
	v_pack_b32_f16 v2, v23, v28
	v_pack_b32_f16 v3, v27, v29
	v_add_u32_e32 v5, 0x600, v47
	ds_write2_b32 v5, v2, v3 offset0:126 offset1:228
	v_pack_b32_f16 v0, v1, v0
	v_pack_b32_f16 v1, v21, v26
	v_add_u32_e32 v3, 0xa00, v47
	;; [unrolled: 4-line block ×3, first 2 shown]
	ds_write2_b32 v2, v0, v1 offset0:150 offset1:252
	v_pack_b32_f16 v0, v9, v10
	v_pack_b32_f16 v5, v6, v8
	s_movk_i32 s19, 0x1000
	v_add_u32_e32 v1, 0x1000, v47
	ds_write2_b32 v1, v0, v5 offset0:98 offset1:200
	s_waitcnt lgkmcnt(0)
	s_barrier
	s_and_b64 exec, exec, s[0:1]
	s_cbranch_execz .LBB0_23
; %bb.22:
	global_load_dword v12, v239, s[6:7]
	v_mad_u64_u32 v[5:6], s[0:1], s10, v240, 0
	v_mad_u64_u32 v[7:8], s[0:1], s8, v46, 0
	ds_read_b32 v13, v47
	s_mov_b32 s14, 0x18b64019
	v_mad_u64_u32 v[9:10], s[0:1], s11, v240, v[6:7]
	s_mov_b32 s15, 0x3f48b640
	v_mov_b32_e32 v14, s13
	v_mad_u64_u32 v[10:11], s[0:1], s9, v46, v[8:9]
	s_waitcnt lgkmcnt(0)
	v_lshrrev_b32_e32 v11, 16, v13
	v_mov_b32_e32 v6, v9
	v_mov_b32_e32 v8, v10
	v_lshlrev_b64 v[5:6], 2, v[5:6]
	v_lshlrev_b64 v[7:8], 2, v[7:8]
	s_movk_i32 s16, 0x1ff
	s_movk_i32 s10, 0xffe
	v_mov_b32_e32 v0, 0x7c00
	s_movk_i32 s18, 0x40f
	s_mov_b32 s17, 0x8000
	s_waitcnt vmcnt(0)
	v_mul_f16_sdwa v9, v11, v12 dst_sel:DWORD dst_unused:UNUSED_PAD src0_sel:DWORD src1_sel:WORD_1
	v_fma_f16 v9, v13, v12, v9
	v_mul_f16_sdwa v10, v13, v12 dst_sel:DWORD dst_unused:UNUSED_PAD src0_sel:DWORD src1_sel:WORD_1
	v_cvt_f32_f16_e32 v9, v9
	v_fma_f16 v10, v12, v11, -v10
	v_cvt_f32_f16_e32 v11, v10
	v_add_co_u32_e32 v13, vcc, s12, v5
	v_cvt_f64_f32_e32 v[9:10], v9
	v_cvt_f64_f32_e32 v[11:12], v11
	v_addc_co_u32_e32 v14, vcc, v14, v6, vcc
	v_mul_f64 v[9:10], v[9:10], s[14:15]
	v_mul_f64 v[5:6], v[11:12], s[14:15]
	v_add_co_u32_e32 v7, vcc, v13, v7
	v_addc_co_u32_e32 v8, vcc, v14, v8, vcc
	v_and_or_b32 v9, v10, s16, v9
	v_and_or_b32 v5, v6, s16, v5
	v_cmp_ne_u32_e32 vcc, 0, v9
	v_lshrrev_b32_e32 v11, 8, v10
	v_bfe_u32 v12, v10, 20, 11
	v_cndmask_b32_e64 v9, 0, 1, vcc
	v_cmp_ne_u32_e32 vcc, 0, v5
	v_lshrrev_b32_e32 v13, 8, v6
	v_bfe_u32 v14, v6, 20, 11
	v_sub_u32_e32 v15, 0x3f1, v12
	v_cndmask_b32_e64 v5, 0, 1, vcc
	v_and_or_b32 v9, v11, s10, v9
	v_sub_u32_e32 v16, 0x3f1, v14
	v_med3_i32 v11, v15, 0, 13
	v_and_or_b32 v5, v13, s10, v5
	v_or_b32_e32 v15, 0x1000, v9
	v_add_u32_e32 v12, 0xfffffc10, v12
	v_med3_i32 v13, v16, 0, 13
	v_cmp_ne_u32_e32 vcc, 0, v9
	v_or_b32_e32 v17, 0x1000, v5
	v_lshrrev_b32_e32 v19, v11, v15
	v_add_u32_e32 v14, 0xfffffc10, v14
	v_lshl_or_b32 v16, v12, 12, v9
	v_cndmask_b32_e64 v9, 0, 1, vcc
	v_cmp_ne_u32_e32 vcc, 0, v5
	v_lshrrev_b32_e32 v20, v13, v17
	v_lshlrev_b32_e32 v11, v11, v19
	v_lshl_or_b32 v18, v14, 12, v5
	v_cndmask_b32_e64 v5, 0, 1, vcc
	v_lshlrev_b32_e32 v13, v13, v20
	v_cmp_ne_u32_e32 vcc, v11, v15
	v_cndmask_b32_e64 v11, 0, 1, vcc
	v_cmp_ne_u32_e32 vcc, v13, v17
	v_cndmask_b32_e64 v13, 0, 1, vcc
	v_or_b32_e32 v11, v19, v11
	v_cmp_gt_i32_e32 vcc, 1, v12
	v_cndmask_b32_e32 v11, v16, v11, vcc
	v_or_b32_e32 v13, v20, v13
	v_cmp_gt_i32_e32 vcc, 1, v14
	v_and_b32_e32 v15, 7, v11
	v_cndmask_b32_e32 v13, v18, v13, vcc
	v_cmp_lt_i32_e32 vcc, 5, v15
	v_cmp_eq_u32_e64 s[0:1], 3, v15
	v_lshrrev_b32_e32 v11, 2, v11
	v_and_b32_e32 v16, 7, v13
	s_or_b64 vcc, s[0:1], vcc
	v_cmp_lt_i32_e64 s[2:3], 5, v16
	v_cmp_eq_u32_e64 s[4:5], 3, v16
	v_addc_co_u32_e32 v11, vcc, 0, v11, vcc
	v_lshrrev_b32_e32 v13, 2, v13
	s_or_b64 vcc, s[4:5], s[2:3]
	v_addc_co_u32_e32 v13, vcc, 0, v13, vcc
	v_cmp_gt_i32_e32 vcc, 31, v12
	v_cndmask_b32_e32 v11, v0, v11, vcc
	v_cmp_gt_i32_e32 vcc, 31, v14
	v_lshl_or_b32 v9, v9, 9, v0
	v_cndmask_b32_e32 v13, v0, v13, vcc
	v_cmp_eq_u32_e32 vcc, s18, v12
	v_lshrrev_b32_e32 v10, 16, v10
	v_lshl_or_b32 v5, v5, 9, v0
	v_cndmask_b32_e32 v9, v11, v9, vcc
	v_cmp_eq_u32_e32 vcc, s18, v14
	v_lshrrev_b32_e32 v6, 16, v6
	v_cndmask_b32_e32 v5, v13, v5, vcc
	v_and_or_b32 v9, v10, s17, v9
	v_and_or_b32 v5, v6, s17, v5
	v_and_b32_e32 v6, 0xffff, v9
	v_lshl_or_b32 v5, v5, 16, v6
	global_store_dword v[7:8], v5, off
	global_load_dword v9, v239, s[6:7] offset:312
	ds_read2_b32 v[5:6], v47 offset0:78 offset1:156
	s_mul_i32 s0, s9, 0x138
	s_mul_hi_u32 s9, s8, 0x138
	s_mulk_i32 s8, 0x138
	s_add_i32 s9, s9, s0
	s_waitcnt lgkmcnt(0)
	v_lshrrev_b32_e32 v10, 16, v5
	v_add_co_u32_e32 v7, vcc, s8, v7
	s_waitcnt vmcnt(0)
	v_mul_f16_sdwa v11, v10, v9 dst_sel:DWORD dst_unused:UNUSED_PAD src0_sel:DWORD src1_sel:WORD_1
	v_fma_f16 v11, v5, v9, v11
	v_mul_f16_sdwa v5, v5, v9 dst_sel:DWORD dst_unused:UNUSED_PAD src0_sel:DWORD src1_sel:WORD_1
	v_cvt_f32_f16_e32 v11, v11
	v_fma_f16 v5, v9, v10, -v5
	v_cvt_f32_f16_e32 v5, v5
	v_cvt_f64_f32_e32 v[9:10], v11
	v_cvt_f64_f32_e32 v[11:12], v5
	v_mov_b32_e32 v5, s9
	v_mul_f64 v[9:10], v[9:10], s[14:15]
	v_addc_co_u32_e32 v8, vcc, v8, v5, vcc
	v_mul_f64 v[11:12], v[11:12], s[14:15]
	v_and_or_b32 v5, v10, s16, v9
	v_cmp_ne_u32_e32 vcc, 0, v5
	v_lshrrev_b32_e32 v9, 8, v10
	v_and_or_b32 v11, v12, s16, v11
	v_bfe_u32 v13, v10, 20, 11
	v_cndmask_b32_e64 v5, 0, 1, vcc
	v_cmp_ne_u32_e32 vcc, 0, v11
	v_lshrrev_b32_e32 v14, 8, v12
	v_bfe_u32 v15, v12, 20, 11
	v_sub_u32_e32 v16, 0x3f1, v13
	v_cndmask_b32_e64 v11, 0, 1, vcc
	v_and_or_b32 v5, v9, s10, v5
	v_sub_u32_e32 v17, 0x3f1, v15
	v_med3_i32 v9, v16, 0, 13
	v_and_or_b32 v11, v14, s10, v11
	v_or_b32_e32 v16, 0x1000, v5
	v_add_u32_e32 v13, 0xfffffc10, v13
	v_med3_i32 v14, v17, 0, 13
	v_cmp_ne_u32_e32 vcc, 0, v5
	v_or_b32_e32 v18, 0x1000, v11
	v_lshrrev_b32_e32 v20, v9, v16
	v_add_u32_e32 v15, 0xfffffc10, v15
	v_lshl_or_b32 v17, v13, 12, v5
	v_cndmask_b32_e64 v5, 0, 1, vcc
	v_cmp_ne_u32_e32 vcc, 0, v11
	v_lshrrev_b32_e32 v21, v14, v18
	v_lshlrev_b32_e32 v9, v9, v20
	v_lshl_or_b32 v19, v15, 12, v11
	v_cndmask_b32_e64 v11, 0, 1, vcc
	v_lshlrev_b32_e32 v14, v14, v21
	v_cmp_ne_u32_e32 vcc, v9, v16
	v_cndmask_b32_e64 v9, 0, 1, vcc
	v_cmp_ne_u32_e32 vcc, v14, v18
	v_cndmask_b32_e64 v14, 0, 1, vcc
	v_or_b32_e32 v9, v20, v9
	v_cmp_gt_i32_e32 vcc, 1, v13
	v_cndmask_b32_e32 v9, v17, v9, vcc
	v_or_b32_e32 v14, v21, v14
	v_cmp_gt_i32_e32 vcc, 1, v15
	v_and_b32_e32 v16, 7, v9
	v_cndmask_b32_e32 v14, v19, v14, vcc
	v_cmp_lt_i32_e32 vcc, 5, v16
	v_cmp_eq_u32_e64 s[0:1], 3, v16
	v_lshrrev_b32_e32 v9, 2, v9
	v_and_b32_e32 v17, 7, v14
	s_or_b64 vcc, s[0:1], vcc
	v_cmp_lt_i32_e64 s[2:3], 5, v17
	v_cmp_eq_u32_e64 s[4:5], 3, v17
	v_addc_co_u32_e32 v9, vcc, 0, v9, vcc
	v_lshrrev_b32_e32 v14, 2, v14
	s_or_b64 vcc, s[4:5], s[2:3]
	v_addc_co_u32_e32 v14, vcc, 0, v14, vcc
	v_cmp_gt_i32_e32 vcc, 31, v13
	v_cndmask_b32_e32 v9, v0, v9, vcc
	v_cmp_gt_i32_e32 vcc, 31, v15
	v_lshl_or_b32 v5, v5, 9, v0
	v_cndmask_b32_e32 v14, v0, v14, vcc
	v_cmp_eq_u32_e32 vcc, s18, v13
	v_lshrrev_b32_e32 v10, 16, v10
	v_lshl_or_b32 v11, v11, 9, v0
	v_cndmask_b32_e32 v5, v9, v5, vcc
	v_cmp_eq_u32_e32 vcc, s18, v15
	v_lshrrev_b32_e32 v12, 16, v12
	v_cndmask_b32_e32 v9, v14, v11, vcc
	v_and_or_b32 v5, v10, s17, v5
	v_and_or_b32 v9, v12, s17, v9
	v_and_b32_e32 v5, 0xffff, v5
	v_lshl_or_b32 v5, v9, 16, v5
	global_store_dword v[7:8], v5, off
	global_load_dword v5, v239, s[6:7] offset:624
	v_lshrrev_b32_e32 v9, 16, v6
	v_mov_b32_e32 v11, s9
	v_add_co_u32_e32 v7, vcc, s8, v7
	v_addc_co_u32_e32 v8, vcc, v8, v11, vcc
	s_waitcnt vmcnt(0)
	v_mul_f16_sdwa v10, v9, v5 dst_sel:DWORD dst_unused:UNUSED_PAD src0_sel:DWORD src1_sel:WORD_1
	v_fma_f16 v10, v6, v5, v10
	v_mul_f16_sdwa v6, v6, v5 dst_sel:DWORD dst_unused:UNUSED_PAD src0_sel:DWORD src1_sel:WORD_1
	v_cvt_f32_f16_e32 v10, v10
	v_fma_f16 v5, v5, v9, -v6
	v_cvt_f32_f16_e32 v9, v5
	v_cvt_f64_f32_e32 v[5:6], v10
	v_cvt_f64_f32_e32 v[9:10], v9
	v_mul_f64 v[5:6], v[5:6], s[14:15]
	v_mul_f64 v[9:10], v[9:10], s[14:15]
	v_and_or_b32 v5, v6, s16, v5
	v_cmp_ne_u32_e32 vcc, 0, v5
	v_and_or_b32 v9, v10, s16, v9
	v_lshrrev_b32_e32 v11, 8, v6
	v_bfe_u32 v12, v6, 20, 11
	v_cndmask_b32_e64 v5, 0, 1, vcc
	v_cmp_ne_u32_e32 vcc, 0, v9
	v_lshrrev_b32_e32 v13, 8, v10
	v_bfe_u32 v14, v10, 20, 11
	v_sub_u32_e32 v15, 0x3f1, v12
	v_cndmask_b32_e64 v9, 0, 1, vcc
	v_and_or_b32 v5, v11, s10, v5
	v_sub_u32_e32 v16, 0x3f1, v14
	v_med3_i32 v11, v15, 0, 13
	v_and_or_b32 v9, v13, s10, v9
	v_or_b32_e32 v15, 0x1000, v5
	v_add_u32_e32 v12, 0xfffffc10, v12
	v_med3_i32 v13, v16, 0, 13
	v_cmp_ne_u32_e32 vcc, 0, v5
	v_or_b32_e32 v17, 0x1000, v9
	v_lshrrev_b32_e32 v19, v11, v15
	v_add_u32_e32 v14, 0xfffffc10, v14
	v_lshl_or_b32 v16, v12, 12, v5
	v_cndmask_b32_e64 v5, 0, 1, vcc
	v_cmp_ne_u32_e32 vcc, 0, v9
	v_lshrrev_b32_e32 v20, v13, v17
	v_lshlrev_b32_e32 v11, v11, v19
	v_lshl_or_b32 v18, v14, 12, v9
	v_cndmask_b32_e64 v9, 0, 1, vcc
	v_lshlrev_b32_e32 v13, v13, v20
	v_cmp_ne_u32_e32 vcc, v11, v15
	v_cndmask_b32_e64 v11, 0, 1, vcc
	v_cmp_ne_u32_e32 vcc, v13, v17
	v_cndmask_b32_e64 v13, 0, 1, vcc
	v_or_b32_e32 v11, v19, v11
	v_cmp_gt_i32_e32 vcc, 1, v12
	v_cndmask_b32_e32 v11, v16, v11, vcc
	v_or_b32_e32 v13, v20, v13
	v_cmp_gt_i32_e32 vcc, 1, v14
	v_and_b32_e32 v15, 7, v11
	v_cndmask_b32_e32 v13, v18, v13, vcc
	v_cmp_lt_i32_e32 vcc, 5, v15
	v_cmp_eq_u32_e64 s[0:1], 3, v15
	v_lshrrev_b32_e32 v11, 2, v11
	v_and_b32_e32 v16, 7, v13
	s_or_b64 vcc, s[0:1], vcc
	v_cmp_lt_i32_e64 s[2:3], 5, v16
	v_cmp_eq_u32_e64 s[4:5], 3, v16
	v_addc_co_u32_e32 v11, vcc, 0, v11, vcc
	v_lshrrev_b32_e32 v13, 2, v13
	s_or_b64 vcc, s[4:5], s[2:3]
	v_addc_co_u32_e32 v13, vcc, 0, v13, vcc
	v_cmp_gt_i32_e32 vcc, 31, v12
	v_cndmask_b32_e32 v11, v0, v11, vcc
	v_cmp_gt_i32_e32 vcc, 31, v14
	v_lshl_or_b32 v5, v5, 9, v0
	v_cndmask_b32_e32 v13, v0, v13, vcc
	v_cmp_eq_u32_e32 vcc, s18, v12
	v_lshrrev_b32_e32 v6, 16, v6
	v_lshl_or_b32 v9, v9, 9, v0
	v_cndmask_b32_e32 v5, v11, v5, vcc
	v_cmp_eq_u32_e32 vcc, s18, v14
	v_lshrrev_b32_e32 v10, 16, v10
	v_cndmask_b32_e32 v9, v13, v9, vcc
	v_and_or_b32 v5, v6, s17, v5
	v_and_or_b32 v6, v10, s17, v9
	v_and_b32_e32 v5, 0xffff, v5
	v_lshl_or_b32 v5, v6, 16, v5
	global_store_dword v[7:8], v5, off
	global_load_dword v9, v239, s[6:7] offset:936
	v_add_u32_e32 v5, 0x200, v47
	ds_read2_b32 v[5:6], v5 offset0:106 offset1:184
	v_add_co_u32_e32 v7, vcc, s8, v7
	s_waitcnt lgkmcnt(0)
	v_lshrrev_b32_e32 v10, 16, v5
	s_waitcnt vmcnt(0)
	v_mul_f16_sdwa v11, v10, v9 dst_sel:DWORD dst_unused:UNUSED_PAD src0_sel:DWORD src1_sel:WORD_1
	v_fma_f16 v11, v5, v9, v11
	v_mul_f16_sdwa v5, v5, v9 dst_sel:DWORD dst_unused:UNUSED_PAD src0_sel:DWORD src1_sel:WORD_1
	v_cvt_f32_f16_e32 v11, v11
	v_fma_f16 v5, v9, v10, -v5
	v_cvt_f32_f16_e32 v5, v5
	v_cvt_f64_f32_e32 v[9:10], v11
	v_cvt_f64_f32_e32 v[11:12], v5
	v_mov_b32_e32 v5, s9
	v_mul_f64 v[9:10], v[9:10], s[14:15]
	v_addc_co_u32_e32 v8, vcc, v8, v5, vcc
	v_mul_f64 v[11:12], v[11:12], s[14:15]
	v_and_or_b32 v5, v10, s16, v9
	v_cmp_ne_u32_e32 vcc, 0, v5
	v_lshrrev_b32_e32 v9, 8, v10
	v_and_or_b32 v11, v12, s16, v11
	v_bfe_u32 v13, v10, 20, 11
	v_cndmask_b32_e64 v5, 0, 1, vcc
	v_cmp_ne_u32_e32 vcc, 0, v11
	v_lshrrev_b32_e32 v14, 8, v12
	v_bfe_u32 v15, v12, 20, 11
	v_sub_u32_e32 v16, 0x3f1, v13
	v_cndmask_b32_e64 v11, 0, 1, vcc
	v_and_or_b32 v5, v9, s10, v5
	v_sub_u32_e32 v17, 0x3f1, v15
	v_med3_i32 v9, v16, 0, 13
	v_and_or_b32 v11, v14, s10, v11
	v_or_b32_e32 v16, 0x1000, v5
	v_add_u32_e32 v13, 0xfffffc10, v13
	v_med3_i32 v14, v17, 0, 13
	v_cmp_ne_u32_e32 vcc, 0, v5
	v_or_b32_e32 v18, 0x1000, v11
	v_lshrrev_b32_e32 v20, v9, v16
	v_add_u32_e32 v15, 0xfffffc10, v15
	v_lshl_or_b32 v17, v13, 12, v5
	v_cndmask_b32_e64 v5, 0, 1, vcc
	v_cmp_ne_u32_e32 vcc, 0, v11
	v_lshrrev_b32_e32 v21, v14, v18
	v_lshlrev_b32_e32 v9, v9, v20
	v_lshl_or_b32 v19, v15, 12, v11
	v_cndmask_b32_e64 v11, 0, 1, vcc
	v_lshlrev_b32_e32 v14, v14, v21
	v_cmp_ne_u32_e32 vcc, v9, v16
	v_cndmask_b32_e64 v9, 0, 1, vcc
	v_cmp_ne_u32_e32 vcc, v14, v18
	v_cndmask_b32_e64 v14, 0, 1, vcc
	v_or_b32_e32 v9, v20, v9
	v_cmp_gt_i32_e32 vcc, 1, v13
	v_cndmask_b32_e32 v9, v17, v9, vcc
	v_or_b32_e32 v14, v21, v14
	v_cmp_gt_i32_e32 vcc, 1, v15
	v_and_b32_e32 v16, 7, v9
	v_cndmask_b32_e32 v14, v19, v14, vcc
	v_cmp_lt_i32_e32 vcc, 5, v16
	v_cmp_eq_u32_e64 s[0:1], 3, v16
	v_lshrrev_b32_e32 v9, 2, v9
	v_and_b32_e32 v17, 7, v14
	s_or_b64 vcc, s[0:1], vcc
	v_cmp_lt_i32_e64 s[2:3], 5, v17
	v_cmp_eq_u32_e64 s[4:5], 3, v17
	v_addc_co_u32_e32 v9, vcc, 0, v9, vcc
	v_lshrrev_b32_e32 v14, 2, v14
	s_or_b64 vcc, s[4:5], s[2:3]
	v_addc_co_u32_e32 v14, vcc, 0, v14, vcc
	v_cmp_gt_i32_e32 vcc, 31, v13
	v_cndmask_b32_e32 v9, v0, v9, vcc
	v_cmp_gt_i32_e32 vcc, 31, v15
	v_lshl_or_b32 v5, v5, 9, v0
	v_cndmask_b32_e32 v14, v0, v14, vcc
	v_cmp_eq_u32_e32 vcc, s18, v13
	v_lshrrev_b32_e32 v10, 16, v10
	v_lshl_or_b32 v11, v11, 9, v0
	v_cndmask_b32_e32 v5, v9, v5, vcc
	v_cmp_eq_u32_e32 vcc, s18, v15
	v_lshrrev_b32_e32 v12, 16, v12
	v_cndmask_b32_e32 v9, v14, v11, vcc
	v_and_or_b32 v5, v10, s17, v5
	v_and_or_b32 v9, v12, s17, v9
	v_and_b32_e32 v5, 0xffff, v5
	v_lshl_or_b32 v5, v9, 16, v5
	global_store_dword v[7:8], v5, off
	global_load_dword v5, v239, s[6:7] offset:1248
	v_lshrrev_b32_e32 v9, 16, v6
	v_mov_b32_e32 v11, s9
	v_add_co_u32_e32 v7, vcc, s8, v7
	v_addc_co_u32_e32 v8, vcc, v8, v11, vcc
	s_waitcnt vmcnt(0)
	v_mul_f16_sdwa v10, v9, v5 dst_sel:DWORD dst_unused:UNUSED_PAD src0_sel:DWORD src1_sel:WORD_1
	v_fma_f16 v10, v6, v5, v10
	v_mul_f16_sdwa v6, v6, v5 dst_sel:DWORD dst_unused:UNUSED_PAD src0_sel:DWORD src1_sel:WORD_1
	v_cvt_f32_f16_e32 v10, v10
	v_fma_f16 v5, v5, v9, -v6
	v_cvt_f32_f16_e32 v9, v5
	v_cvt_f64_f32_e32 v[5:6], v10
	v_cvt_f64_f32_e32 v[9:10], v9
	v_mul_f64 v[5:6], v[5:6], s[14:15]
	v_mul_f64 v[9:10], v[9:10], s[14:15]
	v_and_or_b32 v5, v6, s16, v5
	v_cmp_ne_u32_e32 vcc, 0, v5
	v_and_or_b32 v9, v10, s16, v9
	v_lshrrev_b32_e32 v11, 8, v6
	v_bfe_u32 v12, v6, 20, 11
	v_cndmask_b32_e64 v5, 0, 1, vcc
	v_cmp_ne_u32_e32 vcc, 0, v9
	v_lshrrev_b32_e32 v13, 8, v10
	v_bfe_u32 v14, v10, 20, 11
	v_sub_u32_e32 v15, 0x3f1, v12
	v_cndmask_b32_e64 v9, 0, 1, vcc
	v_and_or_b32 v5, v11, s10, v5
	v_sub_u32_e32 v16, 0x3f1, v14
	v_med3_i32 v11, v15, 0, 13
	v_and_or_b32 v9, v13, s10, v9
	v_or_b32_e32 v15, 0x1000, v5
	v_add_u32_e32 v12, 0xfffffc10, v12
	v_med3_i32 v13, v16, 0, 13
	v_cmp_ne_u32_e32 vcc, 0, v5
	v_or_b32_e32 v17, 0x1000, v9
	v_lshrrev_b32_e32 v19, v11, v15
	v_add_u32_e32 v14, 0xfffffc10, v14
	v_lshl_or_b32 v16, v12, 12, v5
	v_cndmask_b32_e64 v5, 0, 1, vcc
	v_cmp_ne_u32_e32 vcc, 0, v9
	v_lshrrev_b32_e32 v20, v13, v17
	v_lshlrev_b32_e32 v11, v11, v19
	v_lshl_or_b32 v18, v14, 12, v9
	v_cndmask_b32_e64 v9, 0, 1, vcc
	v_lshlrev_b32_e32 v13, v13, v20
	v_cmp_ne_u32_e32 vcc, v11, v15
	v_cndmask_b32_e64 v11, 0, 1, vcc
	v_cmp_ne_u32_e32 vcc, v13, v17
	v_cndmask_b32_e64 v13, 0, 1, vcc
	v_or_b32_e32 v11, v19, v11
	v_cmp_gt_i32_e32 vcc, 1, v12
	v_cndmask_b32_e32 v11, v16, v11, vcc
	v_or_b32_e32 v13, v20, v13
	v_cmp_gt_i32_e32 vcc, 1, v14
	v_and_b32_e32 v15, 7, v11
	v_cndmask_b32_e32 v13, v18, v13, vcc
	v_cmp_lt_i32_e32 vcc, 5, v15
	v_cmp_eq_u32_e64 s[0:1], 3, v15
	v_lshrrev_b32_e32 v11, 2, v11
	v_and_b32_e32 v16, 7, v13
	s_or_b64 vcc, s[0:1], vcc
	v_cmp_lt_i32_e64 s[2:3], 5, v16
	v_cmp_eq_u32_e64 s[4:5], 3, v16
	v_addc_co_u32_e32 v11, vcc, 0, v11, vcc
	v_lshrrev_b32_e32 v13, 2, v13
	s_or_b64 vcc, s[4:5], s[2:3]
	v_addc_co_u32_e32 v13, vcc, 0, v13, vcc
	v_cmp_gt_i32_e32 vcc, 31, v12
	v_cndmask_b32_e32 v11, v0, v11, vcc
	v_cmp_gt_i32_e32 vcc, 31, v14
	v_lshl_or_b32 v5, v5, 9, v0
	v_cndmask_b32_e32 v13, v0, v13, vcc
	v_cmp_eq_u32_e32 vcc, s18, v12
	v_lshrrev_b32_e32 v6, 16, v6
	v_lshl_or_b32 v9, v9, 9, v0
	v_cndmask_b32_e32 v5, v11, v5, vcc
	v_cmp_eq_u32_e32 vcc, s18, v14
	v_lshrrev_b32_e32 v10, 16, v10
	v_cndmask_b32_e32 v9, v13, v9, vcc
	v_and_or_b32 v5, v6, s17, v5
	v_and_or_b32 v6, v10, s17, v9
	v_and_b32_e32 v5, 0xffff, v5
	v_lshl_or_b32 v5, v6, 16, v5
	global_store_dword v[7:8], v5, off
	global_load_dword v6, v239, s[6:7] offset:1560
	ds_read2_b32 v[4:5], v4 offset0:134 offset1:212
	s_waitcnt lgkmcnt(0)
	v_lshrrev_b32_e32 v9, 16, v4
	s_waitcnt vmcnt(0)
	v_mul_f16_sdwa v10, v9, v6 dst_sel:DWORD dst_unused:UNUSED_PAD src0_sel:DWORD src1_sel:WORD_1
	v_fma_f16 v10, v4, v6, v10
	v_mul_f16_sdwa v4, v4, v6 dst_sel:DWORD dst_unused:UNUSED_PAD src0_sel:DWORD src1_sel:WORD_1
	v_cvt_f32_f16_e32 v10, v10
	v_fma_f16 v4, v6, v9, -v4
	v_cvt_f32_f16_e32 v4, v4
	v_add_co_u32_e32 v6, vcc, s8, v7
	v_cvt_f64_f32_e32 v[9:10], v10
	v_cvt_f64_f32_e32 v[11:12], v4
	v_mov_b32_e32 v4, s9
	v_addc_co_u32_e32 v7, vcc, v8, v4, vcc
	v_mul_f64 v[9:10], v[9:10], s[14:15]
	v_mul_f64 v[11:12], v[11:12], s[14:15]
	v_and_or_b32 v4, v10, s16, v9
	v_and_or_b32 v11, v12, s16, v11
	v_cmp_ne_u32_e32 vcc, 0, v4
	v_lshrrev_b32_e32 v8, 8, v10
	v_bfe_u32 v9, v10, 20, 11
	v_cndmask_b32_e64 v4, 0, 1, vcc
	v_cmp_ne_u32_e32 vcc, 0, v11
	v_lshrrev_b32_e32 v13, 8, v12
	v_bfe_u32 v14, v12, 20, 11
	v_sub_u32_e32 v15, 0x3f1, v9
	v_cndmask_b32_e64 v11, 0, 1, vcc
	v_and_or_b32 v4, v8, s10, v4
	v_sub_u32_e32 v16, 0x3f1, v14
	v_med3_i32 v8, v15, 0, 13
	v_and_or_b32 v11, v13, s10, v11
	v_or_b32_e32 v15, 0x1000, v4
	v_add_u32_e32 v9, 0xfffffc10, v9
	v_med3_i32 v13, v16, 0, 13
	v_cmp_ne_u32_e32 vcc, 0, v4
	v_or_b32_e32 v17, 0x1000, v11
	v_lshrrev_b32_e32 v19, v8, v15
	v_add_u32_e32 v14, 0xfffffc10, v14
	v_lshl_or_b32 v16, v9, 12, v4
	v_cndmask_b32_e64 v4, 0, 1, vcc
	v_cmp_ne_u32_e32 vcc, 0, v11
	v_lshrrev_b32_e32 v20, v13, v17
	v_lshlrev_b32_e32 v8, v8, v19
	v_lshl_or_b32 v18, v14, 12, v11
	v_cndmask_b32_e64 v11, 0, 1, vcc
	v_lshlrev_b32_e32 v13, v13, v20
	v_cmp_ne_u32_e32 vcc, v8, v15
	v_cndmask_b32_e64 v8, 0, 1, vcc
	v_cmp_ne_u32_e32 vcc, v13, v17
	v_cndmask_b32_e64 v13, 0, 1, vcc
	v_or_b32_e32 v8, v19, v8
	v_cmp_gt_i32_e32 vcc, 1, v9
	v_cndmask_b32_e32 v8, v16, v8, vcc
	v_or_b32_e32 v13, v20, v13
	v_cmp_gt_i32_e32 vcc, 1, v14
	v_and_b32_e32 v15, 7, v8
	v_cndmask_b32_e32 v13, v18, v13, vcc
	v_cmp_lt_i32_e32 vcc, 5, v15
	v_cmp_eq_u32_e64 s[0:1], 3, v15
	v_lshrrev_b32_e32 v8, 2, v8
	v_and_b32_e32 v16, 7, v13
	s_or_b64 vcc, s[0:1], vcc
	v_cmp_lt_i32_e64 s[2:3], 5, v16
	v_cmp_eq_u32_e64 s[4:5], 3, v16
	v_addc_co_u32_e32 v8, vcc, 0, v8, vcc
	v_lshrrev_b32_e32 v13, 2, v13
	s_or_b64 vcc, s[4:5], s[2:3]
	v_addc_co_u32_e32 v13, vcc, 0, v13, vcc
	v_cmp_gt_i32_e32 vcc, 31, v9
	v_cndmask_b32_e32 v8, v0, v8, vcc
	v_cmp_gt_i32_e32 vcc, 31, v14
	v_lshl_or_b32 v4, v4, 9, v0
	v_cndmask_b32_e32 v13, v0, v13, vcc
	v_cmp_eq_u32_e32 vcc, s18, v9
	v_lshrrev_b32_e32 v10, 16, v10
	v_lshl_or_b32 v11, v11, 9, v0
	v_cndmask_b32_e32 v4, v8, v4, vcc
	v_cmp_eq_u32_e32 vcc, s18, v14
	v_lshrrev_b32_e32 v12, 16, v12
	v_cndmask_b32_e32 v8, v13, v11, vcc
	v_and_or_b32 v4, v10, s17, v4
	v_and_or_b32 v8, v12, s17, v8
	v_and_b32_e32 v4, 0xffff, v4
	v_lshl_or_b32 v4, v8, 16, v4
	global_store_dword v[6:7], v4, off
	global_load_dword v4, v239, s[6:7] offset:1872
	v_lshrrev_b32_e32 v8, 16, v5
	v_mov_b32_e32 v10, s9
	v_add_co_u32_e32 v6, vcc, s8, v6
	v_addc_co_u32_e32 v7, vcc, v7, v10, vcc
	s_waitcnt vmcnt(0)
	v_mul_f16_sdwa v9, v8, v4 dst_sel:DWORD dst_unused:UNUSED_PAD src0_sel:DWORD src1_sel:WORD_1
	v_fma_f16 v9, v5, v4, v9
	v_mul_f16_sdwa v5, v5, v4 dst_sel:DWORD dst_unused:UNUSED_PAD src0_sel:DWORD src1_sel:WORD_1
	v_cvt_f32_f16_e32 v9, v9
	v_fma_f16 v4, v4, v8, -v5
	v_cvt_f32_f16_e32 v8, v4
	v_cvt_f64_f32_e32 v[4:5], v9
	v_cvt_f64_f32_e32 v[8:9], v8
	v_mul_f64 v[4:5], v[4:5], s[14:15]
	v_mul_f64 v[8:9], v[8:9], s[14:15]
	v_and_or_b32 v4, v5, s16, v4
	v_cmp_ne_u32_e32 vcc, 0, v4
	v_and_or_b32 v8, v9, s16, v8
	v_lshrrev_b32_e32 v10, 8, v5
	v_bfe_u32 v11, v5, 20, 11
	v_cndmask_b32_e64 v4, 0, 1, vcc
	v_cmp_ne_u32_e32 vcc, 0, v8
	v_lshrrev_b32_e32 v12, 8, v9
	v_bfe_u32 v13, v9, 20, 11
	v_sub_u32_e32 v14, 0x3f1, v11
	v_cndmask_b32_e64 v8, 0, 1, vcc
	v_and_or_b32 v4, v10, s10, v4
	v_sub_u32_e32 v15, 0x3f1, v13
	v_med3_i32 v10, v14, 0, 13
	v_and_or_b32 v8, v12, s10, v8
	v_or_b32_e32 v14, 0x1000, v4
	v_add_u32_e32 v11, 0xfffffc10, v11
	v_med3_i32 v12, v15, 0, 13
	v_cmp_ne_u32_e32 vcc, 0, v4
	v_or_b32_e32 v16, 0x1000, v8
	v_lshrrev_b32_e32 v18, v10, v14
	v_add_u32_e32 v13, 0xfffffc10, v13
	v_lshl_or_b32 v15, v11, 12, v4
	v_cndmask_b32_e64 v4, 0, 1, vcc
	v_cmp_ne_u32_e32 vcc, 0, v8
	v_lshrrev_b32_e32 v19, v12, v16
	v_lshlrev_b32_e32 v10, v10, v18
	v_lshl_or_b32 v17, v13, 12, v8
	v_cndmask_b32_e64 v8, 0, 1, vcc
	v_lshlrev_b32_e32 v12, v12, v19
	v_cmp_ne_u32_e32 vcc, v10, v14
	v_cndmask_b32_e64 v10, 0, 1, vcc
	v_cmp_ne_u32_e32 vcc, v12, v16
	v_cndmask_b32_e64 v12, 0, 1, vcc
	v_or_b32_e32 v10, v18, v10
	v_cmp_gt_i32_e32 vcc, 1, v11
	v_cndmask_b32_e32 v10, v15, v10, vcc
	v_or_b32_e32 v12, v19, v12
	v_cmp_gt_i32_e32 vcc, 1, v13
	v_and_b32_e32 v14, 7, v10
	v_cndmask_b32_e32 v12, v17, v12, vcc
	v_cmp_lt_i32_e32 vcc, 5, v14
	v_cmp_eq_u32_e64 s[0:1], 3, v14
	v_lshrrev_b32_e32 v10, 2, v10
	v_and_b32_e32 v15, 7, v12
	s_or_b64 vcc, s[0:1], vcc
	v_cmp_lt_i32_e64 s[2:3], 5, v15
	v_cmp_eq_u32_e64 s[4:5], 3, v15
	v_addc_co_u32_e32 v10, vcc, 0, v10, vcc
	v_lshrrev_b32_e32 v12, 2, v12
	s_or_b64 vcc, s[4:5], s[2:3]
	v_addc_co_u32_e32 v12, vcc, 0, v12, vcc
	v_cmp_gt_i32_e32 vcc, 31, v11
	v_cndmask_b32_e32 v10, v0, v10, vcc
	v_cmp_gt_i32_e32 vcc, 31, v13
	v_lshl_or_b32 v4, v4, 9, v0
	v_cndmask_b32_e32 v12, v0, v12, vcc
	v_cmp_eq_u32_e32 vcc, s18, v11
	v_lshrrev_b32_e32 v5, 16, v5
	v_lshl_or_b32 v8, v8, 9, v0
	v_cndmask_b32_e32 v4, v10, v4, vcc
	v_cmp_eq_u32_e32 vcc, s18, v13
	v_lshrrev_b32_e32 v9, 16, v9
	v_cndmask_b32_e32 v8, v12, v8, vcc
	v_and_or_b32 v4, v5, s17, v4
	v_and_or_b32 v5, v9, s17, v8
	v_and_b32_e32 v4, 0xffff, v4
	v_lshl_or_b32 v4, v5, 16, v4
	global_store_dword v[6:7], v4, off
	global_load_dword v8, v239, s[6:7] offset:2184
	v_add_u32_e32 v4, 0x800, v47
	ds_read2_b32 v[4:5], v4 offset0:34 offset1:112
	v_add_co_u32_e32 v6, vcc, s8, v6
	s_waitcnt lgkmcnt(0)
	v_lshrrev_b32_e32 v9, 16, v4
	s_waitcnt vmcnt(0)
	v_mul_f16_sdwa v10, v9, v8 dst_sel:DWORD dst_unused:UNUSED_PAD src0_sel:DWORD src1_sel:WORD_1
	v_fma_f16 v10, v4, v8, v10
	v_mul_f16_sdwa v4, v4, v8 dst_sel:DWORD dst_unused:UNUSED_PAD src0_sel:DWORD src1_sel:WORD_1
	v_cvt_f32_f16_e32 v10, v10
	v_fma_f16 v4, v8, v9, -v4
	v_cvt_f32_f16_e32 v4, v4
	v_cvt_f64_f32_e32 v[8:9], v10
	v_cvt_f64_f32_e32 v[10:11], v4
	v_mov_b32_e32 v4, s9
	v_mul_f64 v[8:9], v[8:9], s[14:15]
	v_addc_co_u32_e32 v7, vcc, v7, v4, vcc
	v_mul_f64 v[10:11], v[10:11], s[14:15]
	v_and_or_b32 v4, v9, s16, v8
	v_cmp_ne_u32_e32 vcc, 0, v4
	v_lshrrev_b32_e32 v8, 8, v9
	v_and_or_b32 v10, v11, s16, v10
	v_bfe_u32 v12, v9, 20, 11
	v_cndmask_b32_e64 v4, 0, 1, vcc
	v_cmp_ne_u32_e32 vcc, 0, v10
	v_lshrrev_b32_e32 v13, 8, v11
	v_bfe_u32 v14, v11, 20, 11
	v_sub_u32_e32 v15, 0x3f1, v12
	v_cndmask_b32_e64 v10, 0, 1, vcc
	v_and_or_b32 v4, v8, s10, v4
	v_sub_u32_e32 v16, 0x3f1, v14
	v_med3_i32 v8, v15, 0, 13
	v_and_or_b32 v10, v13, s10, v10
	v_or_b32_e32 v15, 0x1000, v4
	v_add_u32_e32 v12, 0xfffffc10, v12
	v_med3_i32 v13, v16, 0, 13
	v_cmp_ne_u32_e32 vcc, 0, v4
	v_or_b32_e32 v17, 0x1000, v10
	v_lshrrev_b32_e32 v19, v8, v15
	v_add_u32_e32 v14, 0xfffffc10, v14
	v_lshl_or_b32 v16, v12, 12, v4
	v_cndmask_b32_e64 v4, 0, 1, vcc
	v_cmp_ne_u32_e32 vcc, 0, v10
	v_lshrrev_b32_e32 v20, v13, v17
	v_lshlrev_b32_e32 v8, v8, v19
	v_lshl_or_b32 v18, v14, 12, v10
	v_cndmask_b32_e64 v10, 0, 1, vcc
	v_lshlrev_b32_e32 v13, v13, v20
	v_cmp_ne_u32_e32 vcc, v8, v15
	v_cndmask_b32_e64 v8, 0, 1, vcc
	v_cmp_ne_u32_e32 vcc, v13, v17
	v_cndmask_b32_e64 v13, 0, 1, vcc
	v_or_b32_e32 v8, v19, v8
	v_cmp_gt_i32_e32 vcc, 1, v12
	v_cndmask_b32_e32 v8, v16, v8, vcc
	v_or_b32_e32 v13, v20, v13
	v_cmp_gt_i32_e32 vcc, 1, v14
	v_and_b32_e32 v15, 7, v8
	v_cndmask_b32_e32 v13, v18, v13, vcc
	v_cmp_lt_i32_e32 vcc, 5, v15
	v_cmp_eq_u32_e64 s[0:1], 3, v15
	v_lshrrev_b32_e32 v8, 2, v8
	v_and_b32_e32 v16, 7, v13
	s_or_b64 vcc, s[0:1], vcc
	v_cmp_lt_i32_e64 s[2:3], 5, v16
	v_cmp_eq_u32_e64 s[4:5], 3, v16
	v_addc_co_u32_e32 v8, vcc, 0, v8, vcc
	v_lshrrev_b32_e32 v13, 2, v13
	s_or_b64 vcc, s[4:5], s[2:3]
	v_addc_co_u32_e32 v13, vcc, 0, v13, vcc
	v_cmp_gt_i32_e32 vcc, 31, v12
	v_cndmask_b32_e32 v8, v0, v8, vcc
	v_cmp_gt_i32_e32 vcc, 31, v14
	v_lshl_or_b32 v4, v4, 9, v0
	v_cndmask_b32_e32 v13, v0, v13, vcc
	v_cmp_eq_u32_e32 vcc, s18, v12
	v_lshrrev_b32_e32 v9, 16, v9
	v_lshl_or_b32 v10, v10, 9, v0
	v_cndmask_b32_e32 v4, v8, v4, vcc
	v_cmp_eq_u32_e32 vcc, s18, v14
	v_lshrrev_b32_e32 v11, 16, v11
	v_cndmask_b32_e32 v8, v13, v10, vcc
	v_and_or_b32 v4, v9, s17, v4
	v_and_or_b32 v8, v11, s17, v8
	v_and_b32_e32 v4, 0xffff, v4
	v_lshl_or_b32 v4, v8, 16, v4
	global_store_dword v[6:7], v4, off
	global_load_dword v4, v239, s[6:7] offset:2496
	v_lshrrev_b32_e32 v8, 16, v5
	v_mov_b32_e32 v10, s9
	v_add_co_u32_e32 v6, vcc, s8, v6
	v_addc_co_u32_e32 v7, vcc, v7, v10, vcc
	s_waitcnt vmcnt(0)
	v_mul_f16_sdwa v9, v8, v4 dst_sel:DWORD dst_unused:UNUSED_PAD src0_sel:DWORD src1_sel:WORD_1
	v_fma_f16 v9, v5, v4, v9
	v_mul_f16_sdwa v5, v5, v4 dst_sel:DWORD dst_unused:UNUSED_PAD src0_sel:DWORD src1_sel:WORD_1
	v_cvt_f32_f16_e32 v9, v9
	v_fma_f16 v4, v4, v8, -v5
	v_cvt_f32_f16_e32 v8, v4
	v_cvt_f64_f32_e32 v[4:5], v9
	v_cvt_f64_f32_e32 v[8:9], v8
	v_mul_f64 v[4:5], v[4:5], s[14:15]
	v_mul_f64 v[8:9], v[8:9], s[14:15]
	v_and_or_b32 v4, v5, s16, v4
	v_cmp_ne_u32_e32 vcc, 0, v4
	v_and_or_b32 v8, v9, s16, v8
	v_lshrrev_b32_e32 v10, 8, v5
	v_bfe_u32 v11, v5, 20, 11
	v_cndmask_b32_e64 v4, 0, 1, vcc
	v_cmp_ne_u32_e32 vcc, 0, v8
	v_lshrrev_b32_e32 v12, 8, v9
	v_bfe_u32 v13, v9, 20, 11
	v_sub_u32_e32 v14, 0x3f1, v11
	v_cndmask_b32_e64 v8, 0, 1, vcc
	v_and_or_b32 v4, v10, s10, v4
	v_sub_u32_e32 v15, 0x3f1, v13
	v_med3_i32 v10, v14, 0, 13
	v_and_or_b32 v8, v12, s10, v8
	v_or_b32_e32 v14, 0x1000, v4
	v_add_u32_e32 v11, 0xfffffc10, v11
	v_med3_i32 v12, v15, 0, 13
	v_cmp_ne_u32_e32 vcc, 0, v4
	v_or_b32_e32 v16, 0x1000, v8
	v_lshrrev_b32_e32 v18, v10, v14
	v_add_u32_e32 v13, 0xfffffc10, v13
	v_lshl_or_b32 v15, v11, 12, v4
	v_cndmask_b32_e64 v4, 0, 1, vcc
	v_cmp_ne_u32_e32 vcc, 0, v8
	v_lshrrev_b32_e32 v19, v12, v16
	v_lshlrev_b32_e32 v10, v10, v18
	v_lshl_or_b32 v17, v13, 12, v8
	v_cndmask_b32_e64 v8, 0, 1, vcc
	v_lshlrev_b32_e32 v12, v12, v19
	v_cmp_ne_u32_e32 vcc, v10, v14
	v_cndmask_b32_e64 v10, 0, 1, vcc
	v_cmp_ne_u32_e32 vcc, v12, v16
	v_cndmask_b32_e64 v12, 0, 1, vcc
	v_or_b32_e32 v10, v18, v10
	v_cmp_gt_i32_e32 vcc, 1, v11
	v_cndmask_b32_e32 v10, v15, v10, vcc
	v_or_b32_e32 v12, v19, v12
	v_cmp_gt_i32_e32 vcc, 1, v13
	v_and_b32_e32 v14, 7, v10
	v_cndmask_b32_e32 v12, v17, v12, vcc
	v_cmp_lt_i32_e32 vcc, 5, v14
	v_cmp_eq_u32_e64 s[0:1], 3, v14
	v_lshrrev_b32_e32 v10, 2, v10
	v_and_b32_e32 v15, 7, v12
	s_or_b64 vcc, s[0:1], vcc
	v_cmp_lt_i32_e64 s[2:3], 5, v15
	v_cmp_eq_u32_e64 s[4:5], 3, v15
	v_addc_co_u32_e32 v10, vcc, 0, v10, vcc
	v_lshrrev_b32_e32 v12, 2, v12
	s_or_b64 vcc, s[4:5], s[2:3]
	v_addc_co_u32_e32 v12, vcc, 0, v12, vcc
	v_cmp_gt_i32_e32 vcc, 31, v11
	v_cndmask_b32_e32 v10, v0, v10, vcc
	v_cmp_gt_i32_e32 vcc, 31, v13
	v_lshl_or_b32 v4, v4, 9, v0
	v_cndmask_b32_e32 v12, v0, v12, vcc
	v_cmp_eq_u32_e32 vcc, s18, v11
	v_lshrrev_b32_e32 v5, 16, v5
	v_lshl_or_b32 v8, v8, 9, v0
	v_cndmask_b32_e32 v4, v10, v4, vcc
	v_cmp_eq_u32_e32 vcc, s18, v13
	v_lshrrev_b32_e32 v9, 16, v9
	v_cndmask_b32_e32 v8, v12, v8, vcc
	v_and_or_b32 v4, v5, s17, v4
	v_and_or_b32 v5, v9, s17, v8
	v_and_b32_e32 v4, 0xffff, v4
	v_lshl_or_b32 v4, v5, 16, v4
	global_store_dword v[6:7], v4, off
	global_load_dword v5, v239, s[6:7] offset:2808
	ds_read2_b32 v[3:4], v3 offset0:62 offset1:140
	s_waitcnt lgkmcnt(0)
	v_lshrrev_b32_e32 v8, 16, v3
	s_waitcnt vmcnt(0)
	v_mul_f16_sdwa v9, v8, v5 dst_sel:DWORD dst_unused:UNUSED_PAD src0_sel:DWORD src1_sel:WORD_1
	v_fma_f16 v9, v3, v5, v9
	v_mul_f16_sdwa v3, v3, v5 dst_sel:DWORD dst_unused:UNUSED_PAD src0_sel:DWORD src1_sel:WORD_1
	v_cvt_f32_f16_e32 v9, v9
	v_fma_f16 v3, v5, v8, -v3
	v_cvt_f32_f16_e32 v3, v3
	v_add_co_u32_e32 v5, vcc, s8, v6
	v_cvt_f64_f32_e32 v[8:9], v9
	v_cvt_f64_f32_e32 v[10:11], v3
	v_mov_b32_e32 v3, s9
	v_addc_co_u32_e32 v6, vcc, v7, v3, vcc
	v_mul_f64 v[8:9], v[8:9], s[14:15]
	v_mul_f64 v[10:11], v[10:11], s[14:15]
	v_and_or_b32 v3, v9, s16, v8
	v_and_or_b32 v10, v11, s16, v10
	v_cmp_ne_u32_e32 vcc, 0, v3
	v_lshrrev_b32_e32 v7, 8, v9
	v_bfe_u32 v8, v9, 20, 11
	v_cndmask_b32_e64 v3, 0, 1, vcc
	v_cmp_ne_u32_e32 vcc, 0, v10
	v_lshrrev_b32_e32 v12, 8, v11
	v_bfe_u32 v13, v11, 20, 11
	v_sub_u32_e32 v14, 0x3f1, v8
	v_cndmask_b32_e64 v10, 0, 1, vcc
	v_and_or_b32 v3, v7, s10, v3
	v_sub_u32_e32 v15, 0x3f1, v13
	v_med3_i32 v7, v14, 0, 13
	v_and_or_b32 v10, v12, s10, v10
	v_or_b32_e32 v14, 0x1000, v3
	v_add_u32_e32 v8, 0xfffffc10, v8
	v_med3_i32 v12, v15, 0, 13
	v_cmp_ne_u32_e32 vcc, 0, v3
	v_or_b32_e32 v16, 0x1000, v10
	v_lshrrev_b32_e32 v18, v7, v14
	v_add_u32_e32 v13, 0xfffffc10, v13
	v_lshl_or_b32 v15, v8, 12, v3
	v_cndmask_b32_e64 v3, 0, 1, vcc
	v_cmp_ne_u32_e32 vcc, 0, v10
	v_lshrrev_b32_e32 v19, v12, v16
	v_lshlrev_b32_e32 v7, v7, v18
	v_lshl_or_b32 v17, v13, 12, v10
	v_cndmask_b32_e64 v10, 0, 1, vcc
	v_lshlrev_b32_e32 v12, v12, v19
	v_cmp_ne_u32_e32 vcc, v7, v14
	v_cndmask_b32_e64 v7, 0, 1, vcc
	v_cmp_ne_u32_e32 vcc, v12, v16
	v_cndmask_b32_e64 v12, 0, 1, vcc
	v_or_b32_e32 v7, v18, v7
	v_cmp_gt_i32_e32 vcc, 1, v8
	v_cndmask_b32_e32 v7, v15, v7, vcc
	v_or_b32_e32 v12, v19, v12
	v_cmp_gt_i32_e32 vcc, 1, v13
	v_and_b32_e32 v14, 7, v7
	v_cndmask_b32_e32 v12, v17, v12, vcc
	v_cmp_lt_i32_e32 vcc, 5, v14
	v_cmp_eq_u32_e64 s[0:1], 3, v14
	v_lshrrev_b32_e32 v7, 2, v7
	v_and_b32_e32 v15, 7, v12
	s_or_b64 vcc, s[0:1], vcc
	v_cmp_lt_i32_e64 s[2:3], 5, v15
	v_cmp_eq_u32_e64 s[4:5], 3, v15
	v_addc_co_u32_e32 v7, vcc, 0, v7, vcc
	v_lshrrev_b32_e32 v12, 2, v12
	s_or_b64 vcc, s[4:5], s[2:3]
	v_addc_co_u32_e32 v12, vcc, 0, v12, vcc
	v_cmp_gt_i32_e32 vcc, 31, v8
	v_cndmask_b32_e32 v7, v0, v7, vcc
	v_cmp_gt_i32_e32 vcc, 31, v13
	v_lshl_or_b32 v3, v3, 9, v0
	v_cndmask_b32_e32 v12, v0, v12, vcc
	v_cmp_eq_u32_e32 vcc, s18, v8
	v_lshrrev_b32_e32 v9, 16, v9
	v_lshl_or_b32 v10, v10, 9, v0
	v_cndmask_b32_e32 v3, v7, v3, vcc
	v_cmp_eq_u32_e32 vcc, s18, v13
	v_lshrrev_b32_e32 v11, 16, v11
	v_cndmask_b32_e32 v7, v12, v10, vcc
	v_and_or_b32 v3, v9, s17, v3
	v_and_or_b32 v7, v11, s17, v7
	v_and_b32_e32 v3, 0xffff, v3
	v_lshl_or_b32 v3, v7, 16, v3
	global_store_dword v[5:6], v3, off
	global_load_dword v3, v239, s[6:7] offset:3120
	v_lshrrev_b32_e32 v7, 16, v4
	v_mov_b32_e32 v9, s9
	v_add_co_u32_e32 v5, vcc, s8, v5
	v_addc_co_u32_e32 v6, vcc, v6, v9, vcc
	s_waitcnt vmcnt(0)
	v_mul_f16_sdwa v8, v7, v3 dst_sel:DWORD dst_unused:UNUSED_PAD src0_sel:DWORD src1_sel:WORD_1
	v_fma_f16 v8, v4, v3, v8
	v_mul_f16_sdwa v4, v4, v3 dst_sel:DWORD dst_unused:UNUSED_PAD src0_sel:DWORD src1_sel:WORD_1
	v_cvt_f32_f16_e32 v8, v8
	v_fma_f16 v3, v3, v7, -v4
	v_cvt_f32_f16_e32 v7, v3
	v_cvt_f64_f32_e32 v[3:4], v8
	v_cvt_f64_f32_e32 v[7:8], v7
	v_mul_f64 v[3:4], v[3:4], s[14:15]
	v_mul_f64 v[7:8], v[7:8], s[14:15]
	v_and_or_b32 v3, v4, s16, v3
	v_cmp_ne_u32_e32 vcc, 0, v3
	v_and_or_b32 v7, v8, s16, v7
	v_lshrrev_b32_e32 v9, 8, v4
	v_bfe_u32 v10, v4, 20, 11
	v_cndmask_b32_e64 v3, 0, 1, vcc
	v_cmp_ne_u32_e32 vcc, 0, v7
	v_lshrrev_b32_e32 v11, 8, v8
	v_bfe_u32 v12, v8, 20, 11
	v_sub_u32_e32 v13, 0x3f1, v10
	v_cndmask_b32_e64 v7, 0, 1, vcc
	v_and_or_b32 v3, v9, s10, v3
	v_sub_u32_e32 v14, 0x3f1, v12
	v_med3_i32 v9, v13, 0, 13
	v_and_or_b32 v7, v11, s10, v7
	v_or_b32_e32 v13, 0x1000, v3
	v_add_u32_e32 v10, 0xfffffc10, v10
	v_med3_i32 v11, v14, 0, 13
	v_cmp_ne_u32_e32 vcc, 0, v3
	v_or_b32_e32 v15, 0x1000, v7
	v_lshrrev_b32_e32 v17, v9, v13
	v_add_u32_e32 v12, 0xfffffc10, v12
	v_lshl_or_b32 v14, v10, 12, v3
	v_cndmask_b32_e64 v3, 0, 1, vcc
	v_cmp_ne_u32_e32 vcc, 0, v7
	v_lshrrev_b32_e32 v18, v11, v15
	v_lshlrev_b32_e32 v9, v9, v17
	v_lshl_or_b32 v16, v12, 12, v7
	v_cndmask_b32_e64 v7, 0, 1, vcc
	v_lshlrev_b32_e32 v11, v11, v18
	v_cmp_ne_u32_e32 vcc, v9, v13
	v_cndmask_b32_e64 v9, 0, 1, vcc
	v_cmp_ne_u32_e32 vcc, v11, v15
	v_cndmask_b32_e64 v11, 0, 1, vcc
	v_or_b32_e32 v9, v17, v9
	v_cmp_gt_i32_e32 vcc, 1, v10
	v_cndmask_b32_e32 v9, v14, v9, vcc
	v_or_b32_e32 v11, v18, v11
	v_cmp_gt_i32_e32 vcc, 1, v12
	v_and_b32_e32 v13, 7, v9
	v_cndmask_b32_e32 v11, v16, v11, vcc
	v_cmp_lt_i32_e32 vcc, 5, v13
	v_cmp_eq_u32_e64 s[0:1], 3, v13
	v_lshrrev_b32_e32 v9, 2, v9
	v_and_b32_e32 v14, 7, v11
	s_or_b64 vcc, s[0:1], vcc
	v_cmp_lt_i32_e64 s[2:3], 5, v14
	v_cmp_eq_u32_e64 s[4:5], 3, v14
	v_addc_co_u32_e32 v9, vcc, 0, v9, vcc
	v_lshrrev_b32_e32 v11, 2, v11
	s_or_b64 vcc, s[4:5], s[2:3]
	v_addc_co_u32_e32 v11, vcc, 0, v11, vcc
	v_cmp_gt_i32_e32 vcc, 31, v10
	v_cndmask_b32_e32 v9, v0, v9, vcc
	v_cmp_gt_i32_e32 vcc, 31, v12
	v_lshl_or_b32 v3, v3, 9, v0
	v_cndmask_b32_e32 v11, v0, v11, vcc
	v_cmp_eq_u32_e32 vcc, s18, v10
	v_lshrrev_b32_e32 v4, 16, v4
	v_lshl_or_b32 v7, v7, 9, v0
	v_cndmask_b32_e32 v3, v9, v3, vcc
	v_cmp_eq_u32_e32 vcc, s18, v12
	v_lshrrev_b32_e32 v8, 16, v8
	v_cndmask_b32_e32 v7, v11, v7, vcc
	v_and_or_b32 v3, v4, s17, v3
	v_and_or_b32 v4, v8, s17, v7
	v_and_b32_e32 v3, 0xffff, v3
	v_lshl_or_b32 v3, v4, 16, v3
	global_store_dword v[5:6], v3, off
	global_load_dword v4, v239, s[6:7] offset:3432
	ds_read2_b32 v[2:3], v2 offset0:90 offset1:168
	s_waitcnt lgkmcnt(0)
	v_lshrrev_b32_e32 v7, 16, v2
	s_waitcnt vmcnt(0)
	v_mul_f16_sdwa v8, v7, v4 dst_sel:DWORD dst_unused:UNUSED_PAD src0_sel:DWORD src1_sel:WORD_1
	v_fma_f16 v8, v2, v4, v8
	v_mul_f16_sdwa v2, v2, v4 dst_sel:DWORD dst_unused:UNUSED_PAD src0_sel:DWORD src1_sel:WORD_1
	v_cvt_f32_f16_e32 v8, v8
	v_fma_f16 v2, v4, v7, -v2
	v_cvt_f32_f16_e32 v2, v2
	v_add_co_u32_e32 v4, vcc, s8, v5
	v_cvt_f64_f32_e32 v[7:8], v8
	v_cvt_f64_f32_e32 v[9:10], v2
	v_mov_b32_e32 v2, s9
	v_addc_co_u32_e32 v5, vcc, v6, v2, vcc
	v_mul_f64 v[7:8], v[7:8], s[14:15]
	v_mul_f64 v[9:10], v[9:10], s[14:15]
	v_and_or_b32 v2, v8, s16, v7
	v_and_or_b32 v9, v10, s16, v9
	v_cmp_ne_u32_e32 vcc, 0, v2
	v_lshrrev_b32_e32 v6, 8, v8
	v_bfe_u32 v7, v8, 20, 11
	v_cndmask_b32_e64 v2, 0, 1, vcc
	v_cmp_ne_u32_e32 vcc, 0, v9
	v_lshrrev_b32_e32 v11, 8, v10
	v_bfe_u32 v12, v10, 20, 11
	v_sub_u32_e32 v13, 0x3f1, v7
	v_cndmask_b32_e64 v9, 0, 1, vcc
	v_and_or_b32 v2, v6, s10, v2
	v_sub_u32_e32 v14, 0x3f1, v12
	v_med3_i32 v6, v13, 0, 13
	v_and_or_b32 v9, v11, s10, v9
	v_or_b32_e32 v13, 0x1000, v2
	v_add_u32_e32 v7, 0xfffffc10, v7
	v_med3_i32 v11, v14, 0, 13
	v_cmp_ne_u32_e32 vcc, 0, v2
	v_or_b32_e32 v15, 0x1000, v9
	v_lshrrev_b32_e32 v17, v6, v13
	v_add_u32_e32 v12, 0xfffffc10, v12
	v_lshl_or_b32 v14, v7, 12, v2
	v_cndmask_b32_e64 v2, 0, 1, vcc
	v_cmp_ne_u32_e32 vcc, 0, v9
	v_lshrrev_b32_e32 v18, v11, v15
	v_lshlrev_b32_e32 v6, v6, v17
	v_lshl_or_b32 v16, v12, 12, v9
	v_cndmask_b32_e64 v9, 0, 1, vcc
	v_lshlrev_b32_e32 v11, v11, v18
	v_cmp_ne_u32_e32 vcc, v6, v13
	v_cndmask_b32_e64 v6, 0, 1, vcc
	v_cmp_ne_u32_e32 vcc, v11, v15
	v_cndmask_b32_e64 v11, 0, 1, vcc
	v_or_b32_e32 v6, v17, v6
	v_cmp_gt_i32_e32 vcc, 1, v7
	v_cndmask_b32_e32 v6, v14, v6, vcc
	v_or_b32_e32 v11, v18, v11
	v_cmp_gt_i32_e32 vcc, 1, v12
	v_and_b32_e32 v13, 7, v6
	v_cndmask_b32_e32 v11, v16, v11, vcc
	v_cmp_lt_i32_e32 vcc, 5, v13
	v_cmp_eq_u32_e64 s[0:1], 3, v13
	v_lshrrev_b32_e32 v6, 2, v6
	v_and_b32_e32 v14, 7, v11
	s_or_b64 vcc, s[0:1], vcc
	v_cmp_lt_i32_e64 s[2:3], 5, v14
	v_cmp_eq_u32_e64 s[4:5], 3, v14
	v_addc_co_u32_e32 v6, vcc, 0, v6, vcc
	v_lshrrev_b32_e32 v11, 2, v11
	s_or_b64 vcc, s[4:5], s[2:3]
	v_addc_co_u32_e32 v11, vcc, 0, v11, vcc
	v_cmp_gt_i32_e32 vcc, 31, v7
	v_cndmask_b32_e32 v6, v0, v6, vcc
	v_cmp_gt_i32_e32 vcc, 31, v12
	v_lshl_or_b32 v2, v2, 9, v0
	v_cndmask_b32_e32 v11, v0, v11, vcc
	v_cmp_eq_u32_e32 vcc, s18, v7
	v_lshrrev_b32_e32 v8, 16, v8
	v_lshl_or_b32 v9, v9, 9, v0
	v_cndmask_b32_e32 v2, v6, v2, vcc
	v_cmp_eq_u32_e32 vcc, s18, v12
	v_lshrrev_b32_e32 v10, 16, v10
	v_cndmask_b32_e32 v6, v11, v9, vcc
	v_and_or_b32 v2, v8, s17, v2
	v_and_or_b32 v6, v10, s17, v6
	v_and_b32_e32 v2, 0xffff, v2
	v_lshl_or_b32 v2, v6, 16, v2
	global_store_dword v[4:5], v2, off
	global_load_dword v2, v239, s[6:7] offset:3744
	v_lshrrev_b32_e32 v6, 16, v3
	v_mov_b32_e32 v8, s9
	v_add_co_u32_e32 v4, vcc, s8, v4
	v_addc_co_u32_e32 v5, vcc, v5, v8, vcc
	s_waitcnt vmcnt(0)
	v_mul_f16_sdwa v7, v6, v2 dst_sel:DWORD dst_unused:UNUSED_PAD src0_sel:DWORD src1_sel:WORD_1
	v_fma_f16 v7, v3, v2, v7
	v_mul_f16_sdwa v3, v3, v2 dst_sel:DWORD dst_unused:UNUSED_PAD src0_sel:DWORD src1_sel:WORD_1
	v_cvt_f32_f16_e32 v7, v7
	v_fma_f16 v2, v2, v6, -v3
	v_cvt_f32_f16_e32 v6, v2
	v_cvt_f64_f32_e32 v[2:3], v7
	v_cvt_f64_f32_e32 v[6:7], v6
	v_mul_f64 v[2:3], v[2:3], s[14:15]
	v_mul_f64 v[6:7], v[6:7], s[14:15]
	v_and_or_b32 v2, v3, s16, v2
	v_cmp_ne_u32_e32 vcc, 0, v2
	v_and_or_b32 v6, v7, s16, v6
	v_lshrrev_b32_e32 v8, 8, v3
	v_bfe_u32 v9, v3, 20, 11
	v_cndmask_b32_e64 v2, 0, 1, vcc
	v_cmp_ne_u32_e32 vcc, 0, v6
	v_lshrrev_b32_e32 v10, 8, v7
	v_bfe_u32 v11, v7, 20, 11
	v_sub_u32_e32 v12, 0x3f1, v9
	v_cndmask_b32_e64 v6, 0, 1, vcc
	v_and_or_b32 v2, v8, s10, v2
	v_sub_u32_e32 v13, 0x3f1, v11
	v_med3_i32 v8, v12, 0, 13
	v_and_or_b32 v6, v10, s10, v6
	v_or_b32_e32 v12, 0x1000, v2
	v_add_u32_e32 v9, 0xfffffc10, v9
	v_med3_i32 v10, v13, 0, 13
	v_cmp_ne_u32_e32 vcc, 0, v2
	v_or_b32_e32 v14, 0x1000, v6
	v_lshrrev_b32_e32 v16, v8, v12
	v_add_u32_e32 v11, 0xfffffc10, v11
	v_lshl_or_b32 v13, v9, 12, v2
	v_cndmask_b32_e64 v2, 0, 1, vcc
	v_cmp_ne_u32_e32 vcc, 0, v6
	v_lshrrev_b32_e32 v17, v10, v14
	v_lshlrev_b32_e32 v8, v8, v16
	v_lshl_or_b32 v15, v11, 12, v6
	v_cndmask_b32_e64 v6, 0, 1, vcc
	v_lshlrev_b32_e32 v10, v10, v17
	v_cmp_ne_u32_e32 vcc, v8, v12
	v_cndmask_b32_e64 v8, 0, 1, vcc
	v_cmp_ne_u32_e32 vcc, v10, v14
	v_cndmask_b32_e64 v10, 0, 1, vcc
	v_or_b32_e32 v8, v16, v8
	v_cmp_gt_i32_e32 vcc, 1, v9
	v_cndmask_b32_e32 v8, v13, v8, vcc
	v_or_b32_e32 v10, v17, v10
	v_cmp_gt_i32_e32 vcc, 1, v11
	v_and_b32_e32 v12, 7, v8
	v_cndmask_b32_e32 v10, v15, v10, vcc
	v_cmp_lt_i32_e32 vcc, 5, v12
	v_cmp_eq_u32_e64 s[0:1], 3, v12
	v_lshrrev_b32_e32 v8, 2, v8
	v_and_b32_e32 v13, 7, v10
	s_or_b64 vcc, s[0:1], vcc
	v_cmp_lt_i32_e64 s[2:3], 5, v13
	v_cmp_eq_u32_e64 s[4:5], 3, v13
	v_addc_co_u32_e32 v8, vcc, 0, v8, vcc
	v_lshrrev_b32_e32 v10, 2, v10
	s_or_b64 vcc, s[4:5], s[2:3]
	v_addc_co_u32_e32 v10, vcc, 0, v10, vcc
	v_cmp_gt_i32_e32 vcc, 31, v9
	v_cndmask_b32_e32 v8, v0, v8, vcc
	v_cmp_gt_i32_e32 vcc, 31, v11
	v_lshl_or_b32 v2, v2, 9, v0
	v_cndmask_b32_e32 v10, v0, v10, vcc
	v_cmp_eq_u32_e32 vcc, s18, v9
	v_lshrrev_b32_e32 v3, 16, v3
	v_lshl_or_b32 v6, v6, 9, v0
	v_cndmask_b32_e32 v2, v8, v2, vcc
	v_cmp_eq_u32_e32 vcc, s18, v11
	v_lshrrev_b32_e32 v7, 16, v7
	v_cndmask_b32_e32 v6, v10, v6, vcc
	v_and_or_b32 v2, v3, s17, v2
	v_and_or_b32 v3, v7, s17, v6
	v_and_b32_e32 v2, 0xffff, v2
	v_lshl_or_b32 v2, v3, 16, v2
	global_store_dword v[4:5], v2, off
	global_load_dword v6, v239, s[6:7] offset:4056
	v_add_u32_e32 v2, 0xe00, v47
	ds_read2_b32 v[2:3], v2 offset0:118 offset1:196
	v_mov_b32_e32 v8, s7
	v_add_co_u32_e32 v10, vcc, s6, v239
	v_addc_co_u32_e32 v11, vcc, 0, v8, vcc
	s_waitcnt lgkmcnt(0)
	v_lshrrev_b32_e32 v7, 16, v2
	v_add_co_u32_e32 v10, vcc, s19, v10
	v_addc_co_u32_e32 v11, vcc, 0, v11, vcc
	v_mov_b32_e32 v12, s9
	v_add_co_u32_e32 v4, vcc, s8, v4
	v_addc_co_u32_e32 v5, vcc, v5, v12, vcc
	s_waitcnt vmcnt(0)
	v_mul_f16_sdwa v9, v7, v6 dst_sel:DWORD dst_unused:UNUSED_PAD src0_sel:DWORD src1_sel:WORD_1
	v_fma_f16 v9, v2, v6, v9
	v_mul_f16_sdwa v2, v2, v6 dst_sel:DWORD dst_unused:UNUSED_PAD src0_sel:DWORD src1_sel:WORD_1
	v_cvt_f32_f16_e32 v9, v9
	v_fma_f16 v2, v6, v7, -v2
	v_cvt_f32_f16_e32 v2, v2
	v_cvt_f64_f32_e32 v[6:7], v9
	v_cvt_f64_f32_e32 v[8:9], v2
	v_mul_f64 v[6:7], v[6:7], s[14:15]
	v_mul_f64 v[8:9], v[8:9], s[14:15]
	v_and_or_b32 v2, v7, s16, v6
	v_cmp_ne_u32_e32 vcc, 0, v2
	v_and_or_b32 v8, v9, s16, v8
	v_lshrrev_b32_e32 v6, 8, v7
	v_bfe_u32 v12, v7, 20, 11
	v_cndmask_b32_e64 v2, 0, 1, vcc
	v_cmp_ne_u32_e32 vcc, 0, v8
	v_lshrrev_b32_e32 v13, 8, v9
	v_bfe_u32 v14, v9, 20, 11
	v_sub_u32_e32 v15, 0x3f1, v12
	v_cndmask_b32_e64 v8, 0, 1, vcc
	v_and_or_b32 v2, v6, s10, v2
	v_sub_u32_e32 v16, 0x3f1, v14
	v_med3_i32 v6, v15, 0, 13
	v_and_or_b32 v8, v13, s10, v8
	v_or_b32_e32 v15, 0x1000, v2
	v_add_u32_e32 v12, 0xfffffc10, v12
	v_med3_i32 v13, v16, 0, 13
	v_cmp_ne_u32_e32 vcc, 0, v2
	v_or_b32_e32 v17, 0x1000, v8
	v_lshrrev_b32_e32 v19, v6, v15
	v_add_u32_e32 v14, 0xfffffc10, v14
	v_lshl_or_b32 v16, v12, 12, v2
	v_cndmask_b32_e64 v2, 0, 1, vcc
	v_cmp_ne_u32_e32 vcc, 0, v8
	v_lshrrev_b32_e32 v20, v13, v17
	v_lshlrev_b32_e32 v6, v6, v19
	v_lshl_or_b32 v18, v14, 12, v8
	v_cndmask_b32_e64 v8, 0, 1, vcc
	v_lshlrev_b32_e32 v13, v13, v20
	v_cmp_ne_u32_e32 vcc, v6, v15
	v_cndmask_b32_e64 v6, 0, 1, vcc
	v_cmp_ne_u32_e32 vcc, v13, v17
	v_cndmask_b32_e64 v13, 0, 1, vcc
	v_or_b32_e32 v6, v19, v6
	v_cmp_gt_i32_e32 vcc, 1, v12
	v_cndmask_b32_e32 v6, v16, v6, vcc
	v_or_b32_e32 v13, v20, v13
	v_cmp_gt_i32_e32 vcc, 1, v14
	v_and_b32_e32 v15, 7, v6
	v_cndmask_b32_e32 v13, v18, v13, vcc
	v_cmp_lt_i32_e32 vcc, 5, v15
	v_cmp_eq_u32_e64 s[0:1], 3, v15
	v_lshrrev_b32_e32 v6, 2, v6
	v_and_b32_e32 v16, 7, v13
	s_or_b64 vcc, s[0:1], vcc
	v_cmp_lt_i32_e64 s[2:3], 5, v16
	v_cmp_eq_u32_e64 s[4:5], 3, v16
	v_addc_co_u32_e32 v6, vcc, 0, v6, vcc
	v_lshrrev_b32_e32 v13, 2, v13
	s_or_b64 vcc, s[4:5], s[2:3]
	v_addc_co_u32_e32 v13, vcc, 0, v13, vcc
	v_cmp_gt_i32_e32 vcc, 31, v12
	v_cndmask_b32_e32 v6, v0, v6, vcc
	v_cmp_gt_i32_e32 vcc, 31, v14
	v_lshl_or_b32 v2, v2, 9, v0
	v_cndmask_b32_e32 v13, v0, v13, vcc
	v_cmp_eq_u32_e32 vcc, s18, v12
	v_lshrrev_b32_e32 v7, 16, v7
	v_lshl_or_b32 v8, v8, 9, v0
	v_cndmask_b32_e32 v2, v6, v2, vcc
	v_cmp_eq_u32_e32 vcc, s18, v14
	v_lshrrev_b32_e32 v9, 16, v9
	v_cndmask_b32_e32 v6, v13, v8, vcc
	v_and_or_b32 v2, v7, s17, v2
	v_and_or_b32 v6, v9, s17, v6
	v_and_b32_e32 v2, 0xffff, v2
	v_lshl_or_b32 v2, v6, 16, v2
	global_store_dword v[4:5], v2, off
	global_load_dword v2, v[10:11], off offset:272
	v_lshrrev_b32_e32 v6, 16, v3
	v_mov_b32_e32 v8, s9
	v_add_co_u32_e32 v4, vcc, s8, v4
	v_addc_co_u32_e32 v5, vcc, v5, v8, vcc
	s_waitcnt vmcnt(0)
	v_mul_f16_sdwa v7, v6, v2 dst_sel:DWORD dst_unused:UNUSED_PAD src0_sel:DWORD src1_sel:WORD_1
	v_fma_f16 v7, v3, v2, v7
	v_mul_f16_sdwa v3, v3, v2 dst_sel:DWORD dst_unused:UNUSED_PAD src0_sel:DWORD src1_sel:WORD_1
	v_cvt_f32_f16_e32 v7, v7
	v_fma_f16 v2, v2, v6, -v3
	v_cvt_f32_f16_e32 v6, v2
	v_cvt_f64_f32_e32 v[2:3], v7
	v_cvt_f64_f32_e32 v[6:7], v6
	v_mul_f64 v[2:3], v[2:3], s[14:15]
	v_mul_f64 v[6:7], v[6:7], s[14:15]
	v_and_or_b32 v2, v3, s16, v2
	v_cmp_ne_u32_e32 vcc, 0, v2
	v_and_or_b32 v6, v7, s16, v6
	v_lshrrev_b32_e32 v8, 8, v3
	v_bfe_u32 v9, v3, 20, 11
	v_cndmask_b32_e64 v2, 0, 1, vcc
	v_cmp_ne_u32_e32 vcc, 0, v6
	v_lshrrev_b32_e32 v12, 8, v7
	v_bfe_u32 v13, v7, 20, 11
	v_sub_u32_e32 v14, 0x3f1, v9
	v_cndmask_b32_e64 v6, 0, 1, vcc
	v_and_or_b32 v2, v8, s10, v2
	v_sub_u32_e32 v15, 0x3f1, v13
	v_med3_i32 v8, v14, 0, 13
	v_and_or_b32 v6, v12, s10, v6
	v_or_b32_e32 v14, 0x1000, v2
	v_add_u32_e32 v9, 0xfffffc10, v9
	v_med3_i32 v12, v15, 0, 13
	v_cmp_ne_u32_e32 vcc, 0, v2
	v_or_b32_e32 v16, 0x1000, v6
	v_lshrrev_b32_e32 v18, v8, v14
	v_add_u32_e32 v13, 0xfffffc10, v13
	v_lshl_or_b32 v15, v9, 12, v2
	v_cndmask_b32_e64 v2, 0, 1, vcc
	v_cmp_ne_u32_e32 vcc, 0, v6
	v_lshrrev_b32_e32 v19, v12, v16
	v_lshlrev_b32_e32 v8, v8, v18
	v_lshl_or_b32 v17, v13, 12, v6
	v_cndmask_b32_e64 v6, 0, 1, vcc
	v_lshlrev_b32_e32 v12, v12, v19
	v_cmp_ne_u32_e32 vcc, v8, v14
	v_cndmask_b32_e64 v8, 0, 1, vcc
	v_cmp_ne_u32_e32 vcc, v12, v16
	v_cndmask_b32_e64 v12, 0, 1, vcc
	v_or_b32_e32 v8, v18, v8
	v_cmp_gt_i32_e32 vcc, 1, v9
	v_cndmask_b32_e32 v8, v15, v8, vcc
	v_or_b32_e32 v12, v19, v12
	v_cmp_gt_i32_e32 vcc, 1, v13
	v_and_b32_e32 v14, 7, v8
	v_cndmask_b32_e32 v12, v17, v12, vcc
	v_cmp_lt_i32_e32 vcc, 5, v14
	v_cmp_eq_u32_e64 s[0:1], 3, v14
	v_lshrrev_b32_e32 v8, 2, v8
	v_and_b32_e32 v15, 7, v12
	s_or_b64 vcc, s[0:1], vcc
	v_cmp_lt_i32_e64 s[2:3], 5, v15
	v_cmp_eq_u32_e64 s[4:5], 3, v15
	v_addc_co_u32_e32 v8, vcc, 0, v8, vcc
	v_lshrrev_b32_e32 v12, 2, v12
	s_or_b64 vcc, s[4:5], s[2:3]
	v_addc_co_u32_e32 v12, vcc, 0, v12, vcc
	v_cmp_gt_i32_e32 vcc, 31, v9
	v_cndmask_b32_e32 v8, v0, v8, vcc
	v_cmp_gt_i32_e32 vcc, 31, v13
	v_lshl_or_b32 v2, v2, 9, v0
	v_cndmask_b32_e32 v12, v0, v12, vcc
	v_cmp_eq_u32_e32 vcc, s18, v9
	v_lshrrev_b32_e32 v3, 16, v3
	v_lshl_or_b32 v6, v6, 9, v0
	v_cndmask_b32_e32 v2, v8, v2, vcc
	v_cmp_eq_u32_e32 vcc, s18, v13
	v_lshrrev_b32_e32 v7, 16, v7
	v_cndmask_b32_e32 v6, v12, v6, vcc
	v_and_or_b32 v2, v3, s17, v2
	v_and_or_b32 v3, v7, s17, v6
	v_and_b32_e32 v2, 0xffff, v2
	v_lshl_or_b32 v2, v3, 16, v2
	global_store_dword v[4:5], v2, off
	global_load_dword v3, v[10:11], off offset:584
	ds_read2_b32 v[1:2], v1 offset0:146 offset1:224
	s_waitcnt lgkmcnt(0)
	v_lshrrev_b32_e32 v6, 16, v1
	s_waitcnt vmcnt(0)
	v_mul_f16_sdwa v7, v6, v3 dst_sel:DWORD dst_unused:UNUSED_PAD src0_sel:DWORD src1_sel:WORD_1
	v_fma_f16 v7, v1, v3, v7
	v_mul_f16_sdwa v1, v1, v3 dst_sel:DWORD dst_unused:UNUSED_PAD src0_sel:DWORD src1_sel:WORD_1
	v_cvt_f32_f16_e32 v7, v7
	v_fma_f16 v1, v3, v6, -v1
	v_cvt_f32_f16_e32 v1, v1
	v_add_co_u32_e32 v3, vcc, s8, v4
	v_cvt_f64_f32_e32 v[6:7], v7
	v_cvt_f64_f32_e32 v[8:9], v1
	v_mov_b32_e32 v1, s9
	v_addc_co_u32_e32 v4, vcc, v5, v1, vcc
	v_mul_f64 v[6:7], v[6:7], s[14:15]
	v_mul_f64 v[8:9], v[8:9], s[14:15]
	v_and_or_b32 v1, v7, s16, v6
	v_and_or_b32 v8, v9, s16, v8
	v_cmp_ne_u32_e32 vcc, 0, v1
	v_lshrrev_b32_e32 v5, 8, v7
	v_bfe_u32 v6, v7, 20, 11
	v_cndmask_b32_e64 v1, 0, 1, vcc
	v_cmp_ne_u32_e32 vcc, 0, v8
	v_lshrrev_b32_e32 v12, 8, v9
	v_bfe_u32 v13, v9, 20, 11
	v_sub_u32_e32 v14, 0x3f1, v6
	v_cndmask_b32_e64 v8, 0, 1, vcc
	v_and_or_b32 v1, v5, s10, v1
	v_sub_u32_e32 v15, 0x3f1, v13
	v_med3_i32 v5, v14, 0, 13
	v_and_or_b32 v8, v12, s10, v8
	v_or_b32_e32 v14, 0x1000, v1
	v_add_u32_e32 v6, 0xfffffc10, v6
	v_med3_i32 v12, v15, 0, 13
	v_cmp_ne_u32_e32 vcc, 0, v1
	v_or_b32_e32 v16, 0x1000, v8
	v_lshrrev_b32_e32 v18, v5, v14
	v_add_u32_e32 v13, 0xfffffc10, v13
	v_lshl_or_b32 v15, v6, 12, v1
	v_cndmask_b32_e64 v1, 0, 1, vcc
	v_cmp_ne_u32_e32 vcc, 0, v8
	v_lshrrev_b32_e32 v19, v12, v16
	v_lshlrev_b32_e32 v5, v5, v18
	v_lshl_or_b32 v17, v13, 12, v8
	v_cndmask_b32_e64 v8, 0, 1, vcc
	v_lshlrev_b32_e32 v12, v12, v19
	v_cmp_ne_u32_e32 vcc, v5, v14
	v_cndmask_b32_e64 v5, 0, 1, vcc
	v_cmp_ne_u32_e32 vcc, v12, v16
	v_cndmask_b32_e64 v12, 0, 1, vcc
	v_or_b32_e32 v5, v18, v5
	v_cmp_gt_i32_e32 vcc, 1, v6
	v_cndmask_b32_e32 v5, v15, v5, vcc
	v_or_b32_e32 v12, v19, v12
	v_cmp_gt_i32_e32 vcc, 1, v13
	v_and_b32_e32 v14, 7, v5
	v_cndmask_b32_e32 v12, v17, v12, vcc
	v_cmp_lt_i32_e32 vcc, 5, v14
	v_cmp_eq_u32_e64 s[0:1], 3, v14
	v_lshrrev_b32_e32 v5, 2, v5
	v_and_b32_e32 v15, 7, v12
	s_or_b64 vcc, s[0:1], vcc
	v_cmp_lt_i32_e64 s[2:3], 5, v15
	v_cmp_eq_u32_e64 s[4:5], 3, v15
	v_addc_co_u32_e32 v5, vcc, 0, v5, vcc
	v_lshrrev_b32_e32 v12, 2, v12
	s_or_b64 vcc, s[4:5], s[2:3]
	v_addc_co_u32_e32 v12, vcc, 0, v12, vcc
	v_cmp_gt_i32_e32 vcc, 31, v6
	v_cndmask_b32_e32 v5, v0, v5, vcc
	v_cmp_gt_i32_e32 vcc, 31, v13
	v_lshl_or_b32 v1, v1, 9, v0
	v_cndmask_b32_e32 v12, v0, v12, vcc
	v_cmp_eq_u32_e32 vcc, s18, v6
	v_lshrrev_b32_e32 v7, 16, v7
	v_lshl_or_b32 v8, v8, 9, v0
	v_cndmask_b32_e32 v1, v5, v1, vcc
	v_cmp_eq_u32_e32 vcc, s18, v13
	v_lshrrev_b32_e32 v9, 16, v9
	v_cndmask_b32_e32 v5, v12, v8, vcc
	v_and_or_b32 v1, v7, s17, v1
	v_and_or_b32 v5, v9, s17, v5
	v_and_b32_e32 v1, 0xffff, v1
	v_lshl_or_b32 v1, v5, 16, v1
	global_store_dword v[3:4], v1, off
	global_load_dword v1, v[10:11], off offset:896
	v_lshrrev_b32_e32 v5, 16, v2
	v_mov_b32_e32 v7, s9
	s_waitcnt vmcnt(0)
	v_mul_f16_sdwa v6, v5, v1 dst_sel:DWORD dst_unused:UNUSED_PAD src0_sel:DWORD src1_sel:WORD_1
	v_fma_f16 v6, v2, v1, v6
	v_mul_f16_sdwa v2, v2, v1 dst_sel:DWORD dst_unused:UNUSED_PAD src0_sel:DWORD src1_sel:WORD_1
	v_cvt_f32_f16_e32 v6, v6
	v_fma_f16 v1, v1, v5, -v2
	v_cvt_f32_f16_e32 v5, v1
	v_cvt_f64_f32_e32 v[1:2], v6
	v_cvt_f64_f32_e32 v[5:6], v5
	v_mul_f64 v[1:2], v[1:2], s[14:15]
	v_mul_f64 v[5:6], v[5:6], s[14:15]
	v_and_or_b32 v1, v2, s16, v1
	v_cmp_ne_u32_e32 vcc, 0, v1
	v_and_or_b32 v5, v6, s16, v5
	v_lshrrev_b32_e32 v8, 8, v2
	v_bfe_u32 v9, v2, 20, 11
	v_cndmask_b32_e64 v1, 0, 1, vcc
	v_cmp_ne_u32_e32 vcc, 0, v5
	v_lshrrev_b32_e32 v10, 8, v6
	v_bfe_u32 v11, v6, 20, 11
	v_sub_u32_e32 v12, 0x3f1, v9
	v_cndmask_b32_e64 v5, 0, 1, vcc
	v_and_or_b32 v1, v8, s10, v1
	v_sub_u32_e32 v13, 0x3f1, v11
	v_med3_i32 v8, v12, 0, 13
	v_and_or_b32 v5, v10, s10, v5
	v_or_b32_e32 v12, 0x1000, v1
	v_add_u32_e32 v9, 0xfffffc10, v9
	v_med3_i32 v10, v13, 0, 13
	v_cmp_ne_u32_e32 vcc, 0, v1
	v_or_b32_e32 v14, 0x1000, v5
	v_lshrrev_b32_e32 v16, v8, v12
	v_add_u32_e32 v11, 0xfffffc10, v11
	v_lshl_or_b32 v13, v9, 12, v1
	v_cndmask_b32_e64 v1, 0, 1, vcc
	v_cmp_ne_u32_e32 vcc, 0, v5
	v_lshrrev_b32_e32 v17, v10, v14
	v_lshlrev_b32_e32 v8, v8, v16
	v_lshl_or_b32 v15, v11, 12, v5
	v_cndmask_b32_e64 v5, 0, 1, vcc
	v_lshlrev_b32_e32 v10, v10, v17
	v_cmp_ne_u32_e32 vcc, v8, v12
	v_cndmask_b32_e64 v8, 0, 1, vcc
	v_cmp_ne_u32_e32 vcc, v10, v14
	v_cndmask_b32_e64 v10, 0, 1, vcc
	v_or_b32_e32 v8, v16, v8
	v_cmp_gt_i32_e32 vcc, 1, v9
	v_cndmask_b32_e32 v8, v13, v8, vcc
	v_or_b32_e32 v10, v17, v10
	v_cmp_gt_i32_e32 vcc, 1, v11
	v_and_b32_e32 v12, 7, v8
	v_cndmask_b32_e32 v10, v15, v10, vcc
	v_cmp_lt_i32_e32 vcc, 5, v12
	v_cmp_eq_u32_e64 s[0:1], 3, v12
	v_lshrrev_b32_e32 v8, 2, v8
	v_and_b32_e32 v13, 7, v10
	s_or_b64 vcc, s[0:1], vcc
	v_cmp_lt_i32_e64 s[2:3], 5, v13
	v_cmp_eq_u32_e64 s[4:5], 3, v13
	v_addc_co_u32_e32 v8, vcc, 0, v8, vcc
	v_lshrrev_b32_e32 v10, 2, v10
	s_or_b64 vcc, s[4:5], s[2:3]
	v_addc_co_u32_e32 v10, vcc, 0, v10, vcc
	v_cmp_gt_i32_e32 vcc, 31, v9
	v_cndmask_b32_e32 v8, v0, v8, vcc
	v_cmp_gt_i32_e32 vcc, 31, v11
	v_lshl_or_b32 v1, v1, 9, v0
	v_lshl_or_b32 v5, v5, 9, v0
	v_cndmask_b32_e32 v0, v0, v10, vcc
	v_cmp_eq_u32_e32 vcc, s18, v9
	v_lshrrev_b32_e32 v2, 16, v2
	v_cndmask_b32_e32 v1, v8, v1, vcc
	v_cmp_eq_u32_e32 vcc, s18, v11
	v_lshrrev_b32_e32 v6, 16, v6
	v_cndmask_b32_e32 v0, v0, v5, vcc
	v_and_or_b32 v1, v2, s17, v1
	v_and_or_b32 v0, v6, s17, v0
	v_and_b32_e32 v1, 0xffff, v1
	v_lshl_or_b32 v2, v0, 16, v1
	v_add_co_u32_e32 v0, vcc, s8, v3
	v_addc_co_u32_e32 v1, vcc, v4, v7, vcc
	global_store_dword v[0:1], v2, off
.LBB0_23:
	s_endpgm
	.section	.rodata,"a",@progbits
	.p2align	6, 0x0
	.amdhsa_kernel bluestein_single_back_len1326_dim1_half_op_CI_CI
		.amdhsa_group_segment_fixed_size 10608
		.amdhsa_private_segment_fixed_size 28
		.amdhsa_kernarg_size 104
		.amdhsa_user_sgpr_count 6
		.amdhsa_user_sgpr_private_segment_buffer 1
		.amdhsa_user_sgpr_dispatch_ptr 0
		.amdhsa_user_sgpr_queue_ptr 0
		.amdhsa_user_sgpr_kernarg_segment_ptr 1
		.amdhsa_user_sgpr_dispatch_id 0
		.amdhsa_user_sgpr_flat_scratch_init 0
		.amdhsa_user_sgpr_private_segment_size 0
		.amdhsa_uses_dynamic_stack 0
		.amdhsa_system_sgpr_private_segment_wavefront_offset 1
		.amdhsa_system_sgpr_workgroup_id_x 1
		.amdhsa_system_sgpr_workgroup_id_y 0
		.amdhsa_system_sgpr_workgroup_id_z 0
		.amdhsa_system_sgpr_workgroup_info 0
		.amdhsa_system_vgpr_workitem_id 0
		.amdhsa_next_free_vgpr 256
		.amdhsa_next_free_sgpr 52
		.amdhsa_reserve_vcc 1
		.amdhsa_reserve_flat_scratch 0
		.amdhsa_float_round_mode_32 0
		.amdhsa_float_round_mode_16_64 0
		.amdhsa_float_denorm_mode_32 3
		.amdhsa_float_denorm_mode_16_64 3
		.amdhsa_dx10_clamp 1
		.amdhsa_ieee_mode 1
		.amdhsa_fp16_overflow 0
		.amdhsa_exception_fp_ieee_invalid_op 0
		.amdhsa_exception_fp_denorm_src 0
		.amdhsa_exception_fp_ieee_div_zero 0
		.amdhsa_exception_fp_ieee_overflow 0
		.amdhsa_exception_fp_ieee_underflow 0
		.amdhsa_exception_fp_ieee_inexact 0
		.amdhsa_exception_int_div_zero 0
	.end_amdhsa_kernel
	.text
.Lfunc_end0:
	.size	bluestein_single_back_len1326_dim1_half_op_CI_CI, .Lfunc_end0-bluestein_single_back_len1326_dim1_half_op_CI_CI
                                        ; -- End function
	.section	.AMDGPU.csdata,"",@progbits
; Kernel info:
; codeLenInByte = 32892
; NumSgprs: 56
; NumVgprs: 256
; ScratchSize: 28
; MemoryBound: 0
; FloatMode: 240
; IeeeMode: 1
; LDSByteSize: 10608 bytes/workgroup (compile time only)
; SGPRBlocks: 6
; VGPRBlocks: 63
; NumSGPRsForWavesPerEU: 56
; NumVGPRsForWavesPerEU: 256
; Occupancy: 1
; WaveLimiterHint : 1
; COMPUTE_PGM_RSRC2:SCRATCH_EN: 1
; COMPUTE_PGM_RSRC2:USER_SGPR: 6
; COMPUTE_PGM_RSRC2:TRAP_HANDLER: 0
; COMPUTE_PGM_RSRC2:TGID_X_EN: 1
; COMPUTE_PGM_RSRC2:TGID_Y_EN: 0
; COMPUTE_PGM_RSRC2:TGID_Z_EN: 0
; COMPUTE_PGM_RSRC2:TIDIG_COMP_CNT: 0
	.type	__hip_cuid_a810f1fe0433ef63,@object ; @__hip_cuid_a810f1fe0433ef63
	.section	.bss,"aw",@nobits
	.globl	__hip_cuid_a810f1fe0433ef63
__hip_cuid_a810f1fe0433ef63:
	.byte	0                               ; 0x0
	.size	__hip_cuid_a810f1fe0433ef63, 1

	.ident	"AMD clang version 19.0.0git (https://github.com/RadeonOpenCompute/llvm-project roc-6.4.0 25133 c7fe45cf4b819c5991fe208aaa96edf142730f1d)"
	.section	".note.GNU-stack","",@progbits
	.addrsig
	.addrsig_sym __hip_cuid_a810f1fe0433ef63
	.amdgpu_metadata
---
amdhsa.kernels:
  - .args:
      - .actual_access:  read_only
        .address_space:  global
        .offset:         0
        .size:           8
        .value_kind:     global_buffer
      - .actual_access:  read_only
        .address_space:  global
        .offset:         8
        .size:           8
        .value_kind:     global_buffer
      - .actual_access:  read_only
        .address_space:  global
        .offset:         16
        .size:           8
        .value_kind:     global_buffer
      - .actual_access:  read_only
        .address_space:  global
        .offset:         24
        .size:           8
        .value_kind:     global_buffer
      - .actual_access:  read_only
        .address_space:  global
        .offset:         32
        .size:           8
        .value_kind:     global_buffer
      - .offset:         40
        .size:           8
        .value_kind:     by_value
      - .address_space:  global
        .offset:         48
        .size:           8
        .value_kind:     global_buffer
      - .address_space:  global
        .offset:         56
        .size:           8
        .value_kind:     global_buffer
      - .address_space:  global
        .offset:         64
        .size:           8
        .value_kind:     global_buffer
      - .address_space:  global
        .offset:         72
        .size:           8
        .value_kind:     global_buffer
      - .offset:         80
        .size:           4
        .value_kind:     by_value
      - .address_space:  global
        .offset:         88
        .size:           8
        .value_kind:     global_buffer
      - .address_space:  global
        .offset:         96
        .size:           8
        .value_kind:     global_buffer
    .group_segment_fixed_size: 10608
    .kernarg_segment_align: 8
    .kernarg_segment_size: 104
    .language:       OpenCL C
    .language_version:
      - 2
      - 0
    .max_flat_workgroup_size: 204
    .name:           bluestein_single_back_len1326_dim1_half_op_CI_CI
    .private_segment_fixed_size: 28
    .sgpr_count:     56
    .sgpr_spill_count: 0
    .symbol:         bluestein_single_back_len1326_dim1_half_op_CI_CI.kd
    .uniform_work_group_size: 1
    .uses_dynamic_stack: false
    .vgpr_count:     256
    .vgpr_spill_count: 6
    .wavefront_size: 64
amdhsa.target:   amdgcn-amd-amdhsa--gfx906
amdhsa.version:
  - 1
  - 2
...

	.end_amdgpu_metadata
